;; amdgpu-corpus repo=ROCm/rocSPARSE kind=compiled arch=gfx1030 opt=O3
	.amdgcn_target "amdgcn-amd-amdhsa--gfx1030"
	.amdhsa_code_object_version 6
	.section	.text._ZN9rocsparseL23check_matrix_coo_deviceILj256EfiiEEvT2_S1_lPKT0_PKT1_PKS1_21rocsparse_index_base_22rocsparse_matrix_type_20rocsparse_fill_mode_23rocsparse_storage_mode_P22rocsparse_data_status_,"axG",@progbits,_ZN9rocsparseL23check_matrix_coo_deviceILj256EfiiEEvT2_S1_lPKT0_PKT1_PKS1_21rocsparse_index_base_22rocsparse_matrix_type_20rocsparse_fill_mode_23rocsparse_storage_mode_P22rocsparse_data_status_,comdat
	.globl	_ZN9rocsparseL23check_matrix_coo_deviceILj256EfiiEEvT2_S1_lPKT0_PKT1_PKS1_21rocsparse_index_base_22rocsparse_matrix_type_20rocsparse_fill_mode_23rocsparse_storage_mode_P22rocsparse_data_status_ ; -- Begin function _ZN9rocsparseL23check_matrix_coo_deviceILj256EfiiEEvT2_S1_lPKT0_PKT1_PKS1_21rocsparse_index_base_22rocsparse_matrix_type_20rocsparse_fill_mode_23rocsparse_storage_mode_P22rocsparse_data_status_
	.p2align	8
	.type	_ZN9rocsparseL23check_matrix_coo_deviceILj256EfiiEEvT2_S1_lPKT0_PKT1_PKS1_21rocsparse_index_base_22rocsparse_matrix_type_20rocsparse_fill_mode_23rocsparse_storage_mode_P22rocsparse_data_status_,@function
_ZN9rocsparseL23check_matrix_coo_deviceILj256EfiiEEvT2_S1_lPKT0_PKT1_PKS1_21rocsparse_index_base_22rocsparse_matrix_type_20rocsparse_fill_mode_23rocsparse_storage_mode_P22rocsparse_data_status_: ; @_ZN9rocsparseL23check_matrix_coo_deviceILj256EfiiEEvT2_S1_lPKT0_PKT1_PKS1_21rocsparse_index_base_22rocsparse_matrix_type_20rocsparse_fill_mode_23rocsparse_storage_mode_P22rocsparse_data_status_
; %bb.0:
	s_load_dwordx2 s[12:13], s[4:5], 0x8
	v_lshl_or_b32 v0, s6, 8, v0
	v_mov_b32_e32 v1, 0
	s_mov_b32 s0, exec_lo
	s_waitcnt lgkmcnt(0)
	v_cmpx_gt_i64_e64 s[12:13], v[0:1]
	s_cbranch_execz .LBB0_24
; %bb.1:
	s_clause 0x1
	s_load_dwordx2 s[0:1], s[4:5], 0x18
	s_load_dwordx2 s[2:3], s[4:5], 0x0
	v_lshlrev_b64 v[6:7], 2, v[0:1]
	s_load_dwordx4 s[8:11], s[4:5], 0x28
	v_mov_b32_e32 v10, 4
	s_waitcnt lgkmcnt(0)
	v_add_co_u32 v2, vcc_lo, s0, v6
	v_add_co_ci_u32_e64 v3, null, s1, v7, vcc_lo
	global_load_dword v8, v[2:3], off
	s_waitcnt vmcnt(0)
	v_subrev_nc_u32_e32 v4, s8, v8
	v_cmp_lt_i32_e32 vcc_lo, -1, v4
	v_cmp_gt_i32_e64 s0, s2, v4
	s_and_b32 s0, vcc_lo, s0
	s_xor_b32 s6, s0, -1
	s_and_saveexec_b32 s7, s0
	s_cbranch_execz .LBB0_22
; %bb.2:
	s_load_dwordx2 s[0:1], s[4:5], 0x20
	s_waitcnt lgkmcnt(0)
	v_add_co_u32 v4, vcc_lo, s0, v6
	v_add_co_ci_u32_e64 v5, null, s1, v7, vcc_lo
	global_load_dword v9, v[4:5], off
	s_waitcnt vmcnt(0)
	v_subrev_nc_u32_e32 v10, s8, v9
	v_cmp_lt_i32_e32 vcc_lo, -1, v10
	v_cmp_gt_i32_e64 s0, s3, v10
	v_mov_b32_e32 v10, 4
	s_and_b32 s0, vcc_lo, s0
	s_xor_b32 s14, s0, -1
	s_and_saveexec_b32 s15, s0
	s_cbranch_execz .LBB0_21
; %bb.3:
	s_load_dwordx2 s[0:1], s[4:5], 0x10
	v_mov_b32_e32 v10, 1
	s_mov_b32 s16, exec_lo
	s_waitcnt lgkmcnt(0)
	v_add_co_u32 v6, vcc_lo, s0, v6
	v_add_co_ci_u32_e64 v7, null, s1, v7, vcc_lo
	global_load_dword v6, v[6:7], off
	s_waitcnt vmcnt(0)
	v_cmp_eq_f32_e64 s0, 0x7f800000, v6
	v_cmpx_neq_f32_e32 0x7f800000, v6
	s_cbranch_execz .LBB0_20
; %bb.4:
	v_mov_b32_e32 v10, 2
	s_mov_b32 s1, -1
	s_mov_b32 s17, exec_lo
	v_cmpx_o_f32_e32 v6, v6
	s_cbranch_execz .LBB0_19
; %bb.5:
	s_cmp_lg_u32 s9, 0
	s_mov_b32 s18, 0
	s_cbranch_scc0 .LBB0_8
; %bb.6:
	s_cmp_lg_u32 s10, 0
	s_mov_b32 s1, 0
	s_cbranch_scc0 .LBB0_9
; %bb.7:
	v_cmp_le_i32_e32 vcc_lo, v8, v9
	s_mov_b32 s9, -1
	s_mov_b32 s2, 7
	s_and_b32 s18, vcc_lo, exec_lo
	s_branch .LBB0_10
.LBB0_8:
	s_mov_b32 s18, -1
	s_mov_b32 s9, 0
	s_mov_b32 s2, 2
	s_branch .LBB0_12
.LBB0_9:
	s_mov_b32 s1, -1
	s_mov_b32 s2, 2
	s_mov_b32 s9, 0
.LBB0_10:
	s_andn2_b32 vcc_lo, exec_lo, s1
	s_cbranch_vccnz .LBB0_12
; %bb.11:
	v_cmp_lt_i32_e32 vcc_lo, v8, v9
	v_cmp_ge_i32_e64 s1, v8, v9
	s_andn2_b32 s9, s9, exec_lo
	s_andn2_b32 s10, s18, exec_lo
	s_mov_b32 s2, 7
	s_and_b32 s18, vcc_lo, exec_lo
	s_and_b32 s1, s1, exec_lo
	s_or_b32 s9, s9, s18
	s_or_b32 s18, s10, s1
.LBB0_12:
	v_mov_b32_e32 v10, s2
	s_and_saveexec_b32 s10, s18
	s_cbranch_execz .LBB0_18
; %bb.13:
	s_cmp_eq_u32 s11, 0
	v_mov_b32_e32 v10, s2
	s_cselect_b32 s11, -1, 0
	s_add_u32 s12, s12, -1
	s_addc_u32 s13, s13, -1
	s_mov_b32 s1, 0
	v_cmp_gt_u64_e32 vcc_lo, s[12:13], v[0:1]
	s_and_b32 s12, s11, vcc_lo
	s_and_saveexec_b32 s11, s12
	s_cbranch_execz .LBB0_17
; %bb.14:
	global_load_dword v0, v[2:3], off offset:4
	v_mov_b32_e32 v10, s2
	s_mov_b32 s12, exec_lo
	s_waitcnt vmcnt(0)
	v_cmpx_eq_u32_e64 v8, v0
	s_cbranch_execz .LBB0_16
; %bb.15:
	global_load_dword v0, v[4:5], off offset:4
	v_mov_b32_e32 v10, 6
	s_waitcnt vmcnt(0)
	v_subrev_nc_u32_e32 v1, s8, v0
	v_cmp_gt_i32_e64 s2, v9, v0
	v_cmp_lt_i32_e32 vcc_lo, -1, v1
	v_cmp_gt_i32_e64 s1, s3, v1
	s_and_b32 s1, vcc_lo, s1
	s_and_b32 s1, s2, s1
	s_and_b32 s1, s1, exec_lo
.LBB0_16:
	s_or_b32 exec_lo, exec_lo, s12
	s_and_b32 s1, s1, exec_lo
.LBB0_17:
	s_or_b32 exec_lo, exec_lo, s11
	s_andn2_b32 s2, s9, exec_lo
	s_and_b32 s1, s1, exec_lo
	s_or_b32 s9, s2, s1
.LBB0_18:
	s_or_b32 exec_lo, exec_lo, s10
	s_orn2_b32 s1, s9, exec_lo
.LBB0_19:
	s_or_b32 exec_lo, exec_lo, s17
	s_andn2_b32 s0, s0, exec_lo
	s_and_b32 s1, s1, exec_lo
	s_or_b32 s0, s0, s1
.LBB0_20:
	s_or_b32 exec_lo, exec_lo, s16
	s_andn2_b32 s1, s14, exec_lo
	s_and_b32 s0, s0, exec_lo
	s_or_b32 s14, s1, s0
.LBB0_21:
	s_or_b32 exec_lo, exec_lo, s15
	s_andn2_b32 s0, s6, exec_lo
	s_and_b32 s1, s14, exec_lo
	s_or_b32 s6, s0, s1
.LBB0_22:
	s_or_b32 exec_lo, exec_lo, s7
	s_and_b32 exec_lo, exec_lo, s6
	s_cbranch_execz .LBB0_24
; %bb.23:
	s_load_dwordx2 s[0:1], s[4:5], 0x38
	v_mov_b32_e32 v0, 0
	s_waitcnt lgkmcnt(0)
	global_store_dword v0, v10, s[0:1]
.LBB0_24:
	s_endpgm
	.section	.rodata,"a",@progbits
	.p2align	6, 0x0
	.amdhsa_kernel _ZN9rocsparseL23check_matrix_coo_deviceILj256EfiiEEvT2_S1_lPKT0_PKT1_PKS1_21rocsparse_index_base_22rocsparse_matrix_type_20rocsparse_fill_mode_23rocsparse_storage_mode_P22rocsparse_data_status_
		.amdhsa_group_segment_fixed_size 0
		.amdhsa_private_segment_fixed_size 0
		.amdhsa_kernarg_size 64
		.amdhsa_user_sgpr_count 6
		.amdhsa_user_sgpr_private_segment_buffer 1
		.amdhsa_user_sgpr_dispatch_ptr 0
		.amdhsa_user_sgpr_queue_ptr 0
		.amdhsa_user_sgpr_kernarg_segment_ptr 1
		.amdhsa_user_sgpr_dispatch_id 0
		.amdhsa_user_sgpr_flat_scratch_init 0
		.amdhsa_user_sgpr_private_segment_size 0
		.amdhsa_wavefront_size32 1
		.amdhsa_uses_dynamic_stack 0
		.amdhsa_system_sgpr_private_segment_wavefront_offset 0
		.amdhsa_system_sgpr_workgroup_id_x 1
		.amdhsa_system_sgpr_workgroup_id_y 0
		.amdhsa_system_sgpr_workgroup_id_z 0
		.amdhsa_system_sgpr_workgroup_info 0
		.amdhsa_system_vgpr_workitem_id 0
		.amdhsa_next_free_vgpr 11
		.amdhsa_next_free_sgpr 19
		.amdhsa_reserve_vcc 1
		.amdhsa_reserve_flat_scratch 0
		.amdhsa_float_round_mode_32 0
		.amdhsa_float_round_mode_16_64 0
		.amdhsa_float_denorm_mode_32 3
		.amdhsa_float_denorm_mode_16_64 3
		.amdhsa_dx10_clamp 1
		.amdhsa_ieee_mode 1
		.amdhsa_fp16_overflow 0
		.amdhsa_workgroup_processor_mode 1
		.amdhsa_memory_ordered 1
		.amdhsa_forward_progress 1
		.amdhsa_shared_vgpr_count 0
		.amdhsa_exception_fp_ieee_invalid_op 0
		.amdhsa_exception_fp_denorm_src 0
		.amdhsa_exception_fp_ieee_div_zero 0
		.amdhsa_exception_fp_ieee_overflow 0
		.amdhsa_exception_fp_ieee_underflow 0
		.amdhsa_exception_fp_ieee_inexact 0
		.amdhsa_exception_int_div_zero 0
	.end_amdhsa_kernel
	.section	.text._ZN9rocsparseL23check_matrix_coo_deviceILj256EfiiEEvT2_S1_lPKT0_PKT1_PKS1_21rocsparse_index_base_22rocsparse_matrix_type_20rocsparse_fill_mode_23rocsparse_storage_mode_P22rocsparse_data_status_,"axG",@progbits,_ZN9rocsparseL23check_matrix_coo_deviceILj256EfiiEEvT2_S1_lPKT0_PKT1_PKS1_21rocsparse_index_base_22rocsparse_matrix_type_20rocsparse_fill_mode_23rocsparse_storage_mode_P22rocsparse_data_status_,comdat
.Lfunc_end0:
	.size	_ZN9rocsparseL23check_matrix_coo_deviceILj256EfiiEEvT2_S1_lPKT0_PKT1_PKS1_21rocsparse_index_base_22rocsparse_matrix_type_20rocsparse_fill_mode_23rocsparse_storage_mode_P22rocsparse_data_status_, .Lfunc_end0-_ZN9rocsparseL23check_matrix_coo_deviceILj256EfiiEEvT2_S1_lPKT0_PKT1_PKS1_21rocsparse_index_base_22rocsparse_matrix_type_20rocsparse_fill_mode_23rocsparse_storage_mode_P22rocsparse_data_status_
                                        ; -- End function
	.set _ZN9rocsparseL23check_matrix_coo_deviceILj256EfiiEEvT2_S1_lPKT0_PKT1_PKS1_21rocsparse_index_base_22rocsparse_matrix_type_20rocsparse_fill_mode_23rocsparse_storage_mode_P22rocsparse_data_status_.num_vgpr, 11
	.set _ZN9rocsparseL23check_matrix_coo_deviceILj256EfiiEEvT2_S1_lPKT0_PKT1_PKS1_21rocsparse_index_base_22rocsparse_matrix_type_20rocsparse_fill_mode_23rocsparse_storage_mode_P22rocsparse_data_status_.num_agpr, 0
	.set _ZN9rocsparseL23check_matrix_coo_deviceILj256EfiiEEvT2_S1_lPKT0_PKT1_PKS1_21rocsparse_index_base_22rocsparse_matrix_type_20rocsparse_fill_mode_23rocsparse_storage_mode_P22rocsparse_data_status_.numbered_sgpr, 19
	.set _ZN9rocsparseL23check_matrix_coo_deviceILj256EfiiEEvT2_S1_lPKT0_PKT1_PKS1_21rocsparse_index_base_22rocsparse_matrix_type_20rocsparse_fill_mode_23rocsparse_storage_mode_P22rocsparse_data_status_.num_named_barrier, 0
	.set _ZN9rocsparseL23check_matrix_coo_deviceILj256EfiiEEvT2_S1_lPKT0_PKT1_PKS1_21rocsparse_index_base_22rocsparse_matrix_type_20rocsparse_fill_mode_23rocsparse_storage_mode_P22rocsparse_data_status_.private_seg_size, 0
	.set _ZN9rocsparseL23check_matrix_coo_deviceILj256EfiiEEvT2_S1_lPKT0_PKT1_PKS1_21rocsparse_index_base_22rocsparse_matrix_type_20rocsparse_fill_mode_23rocsparse_storage_mode_P22rocsparse_data_status_.uses_vcc, 1
	.set _ZN9rocsparseL23check_matrix_coo_deviceILj256EfiiEEvT2_S1_lPKT0_PKT1_PKS1_21rocsparse_index_base_22rocsparse_matrix_type_20rocsparse_fill_mode_23rocsparse_storage_mode_P22rocsparse_data_status_.uses_flat_scratch, 0
	.set _ZN9rocsparseL23check_matrix_coo_deviceILj256EfiiEEvT2_S1_lPKT0_PKT1_PKS1_21rocsparse_index_base_22rocsparse_matrix_type_20rocsparse_fill_mode_23rocsparse_storage_mode_P22rocsparse_data_status_.has_dyn_sized_stack, 0
	.set _ZN9rocsparseL23check_matrix_coo_deviceILj256EfiiEEvT2_S1_lPKT0_PKT1_PKS1_21rocsparse_index_base_22rocsparse_matrix_type_20rocsparse_fill_mode_23rocsparse_storage_mode_P22rocsparse_data_status_.has_recursion, 0
	.set _ZN9rocsparseL23check_matrix_coo_deviceILj256EfiiEEvT2_S1_lPKT0_PKT1_PKS1_21rocsparse_index_base_22rocsparse_matrix_type_20rocsparse_fill_mode_23rocsparse_storage_mode_P22rocsparse_data_status_.has_indirect_call, 0
	.section	.AMDGPU.csdata,"",@progbits
; Kernel info:
; codeLenInByte = 688
; TotalNumSgprs: 21
; NumVgprs: 11
; ScratchSize: 0
; MemoryBound: 0
; FloatMode: 240
; IeeeMode: 1
; LDSByteSize: 0 bytes/workgroup (compile time only)
; SGPRBlocks: 0
; VGPRBlocks: 1
; NumSGPRsForWavesPerEU: 21
; NumVGPRsForWavesPerEU: 11
; Occupancy: 16
; WaveLimiterHint : 0
; COMPUTE_PGM_RSRC2:SCRATCH_EN: 0
; COMPUTE_PGM_RSRC2:USER_SGPR: 6
; COMPUTE_PGM_RSRC2:TRAP_HANDLER: 0
; COMPUTE_PGM_RSRC2:TGID_X_EN: 1
; COMPUTE_PGM_RSRC2:TGID_Y_EN: 0
; COMPUTE_PGM_RSRC2:TGID_Z_EN: 0
; COMPUTE_PGM_RSRC2:TIDIG_COMP_CNT: 0
	.section	.text._ZN9rocsparseL23check_matrix_coo_deviceILj256EdiiEEvT2_S1_lPKT0_PKT1_PKS1_21rocsparse_index_base_22rocsparse_matrix_type_20rocsparse_fill_mode_23rocsparse_storage_mode_P22rocsparse_data_status_,"axG",@progbits,_ZN9rocsparseL23check_matrix_coo_deviceILj256EdiiEEvT2_S1_lPKT0_PKT1_PKS1_21rocsparse_index_base_22rocsparse_matrix_type_20rocsparse_fill_mode_23rocsparse_storage_mode_P22rocsparse_data_status_,comdat
	.globl	_ZN9rocsparseL23check_matrix_coo_deviceILj256EdiiEEvT2_S1_lPKT0_PKT1_PKS1_21rocsparse_index_base_22rocsparse_matrix_type_20rocsparse_fill_mode_23rocsparse_storage_mode_P22rocsparse_data_status_ ; -- Begin function _ZN9rocsparseL23check_matrix_coo_deviceILj256EdiiEEvT2_S1_lPKT0_PKT1_PKS1_21rocsparse_index_base_22rocsparse_matrix_type_20rocsparse_fill_mode_23rocsparse_storage_mode_P22rocsparse_data_status_
	.p2align	8
	.type	_ZN9rocsparseL23check_matrix_coo_deviceILj256EdiiEEvT2_S1_lPKT0_PKT1_PKS1_21rocsparse_index_base_22rocsparse_matrix_type_20rocsparse_fill_mode_23rocsparse_storage_mode_P22rocsparse_data_status_,@function
_ZN9rocsparseL23check_matrix_coo_deviceILj256EdiiEEvT2_S1_lPKT0_PKT1_PKS1_21rocsparse_index_base_22rocsparse_matrix_type_20rocsparse_fill_mode_23rocsparse_storage_mode_P22rocsparse_data_status_: ; @_ZN9rocsparseL23check_matrix_coo_deviceILj256EdiiEEvT2_S1_lPKT0_PKT1_PKS1_21rocsparse_index_base_22rocsparse_matrix_type_20rocsparse_fill_mode_23rocsparse_storage_mode_P22rocsparse_data_status_
; %bb.0:
	s_load_dwordx2 s[12:13], s[4:5], 0x8
	v_lshl_or_b32 v0, s6, 8, v0
	v_mov_b32_e32 v1, 0
	s_mov_b32 s0, exec_lo
	s_waitcnt lgkmcnt(0)
	v_cmpx_gt_i64_e64 s[12:13], v[0:1]
	s_cbranch_execz .LBB1_24
; %bb.1:
	s_clause 0x1
	s_load_dwordx2 s[0:1], s[4:5], 0x18
	s_load_dwordx2 s[2:3], s[4:5], 0x0
	v_lshlrev_b64 v[4:5], 2, v[0:1]
	s_load_dwordx4 s[8:11], s[4:5], 0x28
	v_mov_b32_e32 v10, 4
	s_waitcnt lgkmcnt(0)
	v_add_co_u32 v2, vcc_lo, s0, v4
	v_add_co_ci_u32_e64 v3, null, s1, v5, vcc_lo
	global_load_dword v8, v[2:3], off
	s_waitcnt vmcnt(0)
	v_subrev_nc_u32_e32 v6, s8, v8
	v_cmp_lt_i32_e32 vcc_lo, -1, v6
	v_cmp_gt_i32_e64 s0, s2, v6
	s_and_b32 s0, vcc_lo, s0
	s_xor_b32 s6, s0, -1
	s_and_saveexec_b32 s7, s0
	s_cbranch_execz .LBB1_22
; %bb.2:
	s_load_dwordx2 s[0:1], s[4:5], 0x20
	v_mov_b32_e32 v10, 4
	s_waitcnt lgkmcnt(0)
	v_add_co_u32 v4, vcc_lo, s0, v4
	v_add_co_ci_u32_e64 v5, null, s1, v5, vcc_lo
	global_load_dword v9, v[4:5], off
	s_waitcnt vmcnt(0)
	v_subrev_nc_u32_e32 v6, s8, v9
	v_cmp_lt_i32_e32 vcc_lo, -1, v6
	v_cmp_gt_i32_e64 s0, s3, v6
	s_and_b32 s0, vcc_lo, s0
	s_xor_b32 s14, s0, -1
	s_and_saveexec_b32 s15, s0
	s_cbranch_execz .LBB1_21
; %bb.3:
	s_load_dwordx2 s[0:1], s[4:5], 0x10
	v_lshlrev_b64 v[6:7], 3, v[0:1]
	v_mov_b32_e32 v10, 1
	s_mov_b32 s16, exec_lo
	s_waitcnt lgkmcnt(0)
	v_add_co_u32 v6, vcc_lo, s0, v6
	v_add_co_ci_u32_e64 v7, null, s1, v7, vcc_lo
	global_load_dwordx2 v[6:7], v[6:7], off
	s_waitcnt vmcnt(0)
	v_cmp_eq_f64_e64 s0, 0x7ff00000, v[6:7]
	v_cmpx_neq_f64_e32 0x7ff00000, v[6:7]
	s_cbranch_execz .LBB1_20
; %bb.4:
	v_mov_b32_e32 v10, 2
	s_mov_b32 s1, -1
	s_mov_b32 s17, exec_lo
	v_cmpx_o_f64_e32 v[6:7], v[6:7]
	s_cbranch_execz .LBB1_19
; %bb.5:
	s_cmp_lg_u32 s9, 0
	s_mov_b32 s18, 0
	s_cbranch_scc0 .LBB1_8
; %bb.6:
	s_cmp_lg_u32 s10, 0
	s_mov_b32 s1, 0
	s_cbranch_scc0 .LBB1_9
; %bb.7:
	v_cmp_le_i32_e32 vcc_lo, v8, v9
	s_mov_b32 s9, -1
	s_mov_b32 s2, 7
	s_and_b32 s18, vcc_lo, exec_lo
	s_branch .LBB1_10
.LBB1_8:
	s_mov_b32 s18, -1
	s_mov_b32 s9, 0
	s_mov_b32 s2, 2
	s_branch .LBB1_12
.LBB1_9:
	s_mov_b32 s1, -1
	s_mov_b32 s2, 2
	s_mov_b32 s9, 0
.LBB1_10:
	s_andn2_b32 vcc_lo, exec_lo, s1
	s_cbranch_vccnz .LBB1_12
; %bb.11:
	v_cmp_lt_i32_e32 vcc_lo, v8, v9
	v_cmp_ge_i32_e64 s1, v8, v9
	s_andn2_b32 s9, s9, exec_lo
	s_andn2_b32 s10, s18, exec_lo
	s_mov_b32 s2, 7
	s_and_b32 s18, vcc_lo, exec_lo
	s_and_b32 s1, s1, exec_lo
	s_or_b32 s9, s9, s18
	s_or_b32 s18, s10, s1
.LBB1_12:
	v_mov_b32_e32 v10, s2
	s_and_saveexec_b32 s10, s18
	s_cbranch_execz .LBB1_18
; %bb.13:
	s_cmp_eq_u32 s11, 0
	v_mov_b32_e32 v10, s2
	s_cselect_b32 s11, -1, 0
	s_add_u32 s12, s12, -1
	s_addc_u32 s13, s13, -1
	s_mov_b32 s1, 0
	v_cmp_gt_u64_e32 vcc_lo, s[12:13], v[0:1]
	s_and_b32 s12, s11, vcc_lo
	s_and_saveexec_b32 s11, s12
	s_cbranch_execz .LBB1_17
; %bb.14:
	global_load_dword v0, v[2:3], off offset:4
	v_mov_b32_e32 v10, s2
	s_mov_b32 s12, exec_lo
	s_waitcnt vmcnt(0)
	v_cmpx_eq_u32_e64 v8, v0
	s_cbranch_execz .LBB1_16
; %bb.15:
	global_load_dword v0, v[4:5], off offset:4
	v_mov_b32_e32 v10, 6
	s_waitcnt vmcnt(0)
	v_subrev_nc_u32_e32 v1, s8, v0
	v_cmp_gt_i32_e64 s2, v9, v0
	v_cmp_lt_i32_e32 vcc_lo, -1, v1
	v_cmp_gt_i32_e64 s1, s3, v1
	s_and_b32 s1, vcc_lo, s1
	s_and_b32 s1, s2, s1
	s_and_b32 s1, s1, exec_lo
.LBB1_16:
	s_or_b32 exec_lo, exec_lo, s12
	s_and_b32 s1, s1, exec_lo
.LBB1_17:
	s_or_b32 exec_lo, exec_lo, s11
	s_andn2_b32 s2, s9, exec_lo
	s_and_b32 s1, s1, exec_lo
	s_or_b32 s9, s2, s1
.LBB1_18:
	s_or_b32 exec_lo, exec_lo, s10
	s_orn2_b32 s1, s9, exec_lo
.LBB1_19:
	s_or_b32 exec_lo, exec_lo, s17
	s_andn2_b32 s0, s0, exec_lo
	s_and_b32 s1, s1, exec_lo
	s_or_b32 s0, s0, s1
.LBB1_20:
	s_or_b32 exec_lo, exec_lo, s16
	s_andn2_b32 s1, s14, exec_lo
	s_and_b32 s0, s0, exec_lo
	s_or_b32 s14, s1, s0
.LBB1_21:
	s_or_b32 exec_lo, exec_lo, s15
	s_andn2_b32 s0, s6, exec_lo
	s_and_b32 s1, s14, exec_lo
	s_or_b32 s6, s0, s1
.LBB1_22:
	s_or_b32 exec_lo, exec_lo, s7
	s_and_b32 exec_lo, exec_lo, s6
	s_cbranch_execz .LBB1_24
; %bb.23:
	s_load_dwordx2 s[0:1], s[4:5], 0x38
	v_mov_b32_e32 v0, 0
	s_waitcnt lgkmcnt(0)
	global_store_dword v0, v10, s[0:1]
.LBB1_24:
	s_endpgm
	.section	.rodata,"a",@progbits
	.p2align	6, 0x0
	.amdhsa_kernel _ZN9rocsparseL23check_matrix_coo_deviceILj256EdiiEEvT2_S1_lPKT0_PKT1_PKS1_21rocsparse_index_base_22rocsparse_matrix_type_20rocsparse_fill_mode_23rocsparse_storage_mode_P22rocsparse_data_status_
		.amdhsa_group_segment_fixed_size 0
		.amdhsa_private_segment_fixed_size 0
		.amdhsa_kernarg_size 64
		.amdhsa_user_sgpr_count 6
		.amdhsa_user_sgpr_private_segment_buffer 1
		.amdhsa_user_sgpr_dispatch_ptr 0
		.amdhsa_user_sgpr_queue_ptr 0
		.amdhsa_user_sgpr_kernarg_segment_ptr 1
		.amdhsa_user_sgpr_dispatch_id 0
		.amdhsa_user_sgpr_flat_scratch_init 0
		.amdhsa_user_sgpr_private_segment_size 0
		.amdhsa_wavefront_size32 1
		.amdhsa_uses_dynamic_stack 0
		.amdhsa_system_sgpr_private_segment_wavefront_offset 0
		.amdhsa_system_sgpr_workgroup_id_x 1
		.amdhsa_system_sgpr_workgroup_id_y 0
		.amdhsa_system_sgpr_workgroup_id_z 0
		.amdhsa_system_sgpr_workgroup_info 0
		.amdhsa_system_vgpr_workitem_id 0
		.amdhsa_next_free_vgpr 11
		.amdhsa_next_free_sgpr 19
		.amdhsa_reserve_vcc 1
		.amdhsa_reserve_flat_scratch 0
		.amdhsa_float_round_mode_32 0
		.amdhsa_float_round_mode_16_64 0
		.amdhsa_float_denorm_mode_32 3
		.amdhsa_float_denorm_mode_16_64 3
		.amdhsa_dx10_clamp 1
		.amdhsa_ieee_mode 1
		.amdhsa_fp16_overflow 0
		.amdhsa_workgroup_processor_mode 1
		.amdhsa_memory_ordered 1
		.amdhsa_forward_progress 1
		.amdhsa_shared_vgpr_count 0
		.amdhsa_exception_fp_ieee_invalid_op 0
		.amdhsa_exception_fp_denorm_src 0
		.amdhsa_exception_fp_ieee_div_zero 0
		.amdhsa_exception_fp_ieee_overflow 0
		.amdhsa_exception_fp_ieee_underflow 0
		.amdhsa_exception_fp_ieee_inexact 0
		.amdhsa_exception_int_div_zero 0
	.end_amdhsa_kernel
	.section	.text._ZN9rocsparseL23check_matrix_coo_deviceILj256EdiiEEvT2_S1_lPKT0_PKT1_PKS1_21rocsparse_index_base_22rocsparse_matrix_type_20rocsparse_fill_mode_23rocsparse_storage_mode_P22rocsparse_data_status_,"axG",@progbits,_ZN9rocsparseL23check_matrix_coo_deviceILj256EdiiEEvT2_S1_lPKT0_PKT1_PKS1_21rocsparse_index_base_22rocsparse_matrix_type_20rocsparse_fill_mode_23rocsparse_storage_mode_P22rocsparse_data_status_,comdat
.Lfunc_end1:
	.size	_ZN9rocsparseL23check_matrix_coo_deviceILj256EdiiEEvT2_S1_lPKT0_PKT1_PKS1_21rocsparse_index_base_22rocsparse_matrix_type_20rocsparse_fill_mode_23rocsparse_storage_mode_P22rocsparse_data_status_, .Lfunc_end1-_ZN9rocsparseL23check_matrix_coo_deviceILj256EdiiEEvT2_S1_lPKT0_PKT1_PKS1_21rocsparse_index_base_22rocsparse_matrix_type_20rocsparse_fill_mode_23rocsparse_storage_mode_P22rocsparse_data_status_
                                        ; -- End function
	.set _ZN9rocsparseL23check_matrix_coo_deviceILj256EdiiEEvT2_S1_lPKT0_PKT1_PKS1_21rocsparse_index_base_22rocsparse_matrix_type_20rocsparse_fill_mode_23rocsparse_storage_mode_P22rocsparse_data_status_.num_vgpr, 11
	.set _ZN9rocsparseL23check_matrix_coo_deviceILj256EdiiEEvT2_S1_lPKT0_PKT1_PKS1_21rocsparse_index_base_22rocsparse_matrix_type_20rocsparse_fill_mode_23rocsparse_storage_mode_P22rocsparse_data_status_.num_agpr, 0
	.set _ZN9rocsparseL23check_matrix_coo_deviceILj256EdiiEEvT2_S1_lPKT0_PKT1_PKS1_21rocsparse_index_base_22rocsparse_matrix_type_20rocsparse_fill_mode_23rocsparse_storage_mode_P22rocsparse_data_status_.numbered_sgpr, 19
	.set _ZN9rocsparseL23check_matrix_coo_deviceILj256EdiiEEvT2_S1_lPKT0_PKT1_PKS1_21rocsparse_index_base_22rocsparse_matrix_type_20rocsparse_fill_mode_23rocsparse_storage_mode_P22rocsparse_data_status_.num_named_barrier, 0
	.set _ZN9rocsparseL23check_matrix_coo_deviceILj256EdiiEEvT2_S1_lPKT0_PKT1_PKS1_21rocsparse_index_base_22rocsparse_matrix_type_20rocsparse_fill_mode_23rocsparse_storage_mode_P22rocsparse_data_status_.private_seg_size, 0
	.set _ZN9rocsparseL23check_matrix_coo_deviceILj256EdiiEEvT2_S1_lPKT0_PKT1_PKS1_21rocsparse_index_base_22rocsparse_matrix_type_20rocsparse_fill_mode_23rocsparse_storage_mode_P22rocsparse_data_status_.uses_vcc, 1
	.set _ZN9rocsparseL23check_matrix_coo_deviceILj256EdiiEEvT2_S1_lPKT0_PKT1_PKS1_21rocsparse_index_base_22rocsparse_matrix_type_20rocsparse_fill_mode_23rocsparse_storage_mode_P22rocsparse_data_status_.uses_flat_scratch, 0
	.set _ZN9rocsparseL23check_matrix_coo_deviceILj256EdiiEEvT2_S1_lPKT0_PKT1_PKS1_21rocsparse_index_base_22rocsparse_matrix_type_20rocsparse_fill_mode_23rocsparse_storage_mode_P22rocsparse_data_status_.has_dyn_sized_stack, 0
	.set _ZN9rocsparseL23check_matrix_coo_deviceILj256EdiiEEvT2_S1_lPKT0_PKT1_PKS1_21rocsparse_index_base_22rocsparse_matrix_type_20rocsparse_fill_mode_23rocsparse_storage_mode_P22rocsparse_data_status_.has_recursion, 0
	.set _ZN9rocsparseL23check_matrix_coo_deviceILj256EdiiEEvT2_S1_lPKT0_PKT1_PKS1_21rocsparse_index_base_22rocsparse_matrix_type_20rocsparse_fill_mode_23rocsparse_storage_mode_P22rocsparse_data_status_.has_indirect_call, 0
	.section	.AMDGPU.csdata,"",@progbits
; Kernel info:
; codeLenInByte = 696
; TotalNumSgprs: 21
; NumVgprs: 11
; ScratchSize: 0
; MemoryBound: 0
; FloatMode: 240
; IeeeMode: 1
; LDSByteSize: 0 bytes/workgroup (compile time only)
; SGPRBlocks: 0
; VGPRBlocks: 1
; NumSGPRsForWavesPerEU: 21
; NumVGPRsForWavesPerEU: 11
; Occupancy: 16
; WaveLimiterHint : 0
; COMPUTE_PGM_RSRC2:SCRATCH_EN: 0
; COMPUTE_PGM_RSRC2:USER_SGPR: 6
; COMPUTE_PGM_RSRC2:TRAP_HANDLER: 0
; COMPUTE_PGM_RSRC2:TGID_X_EN: 1
; COMPUTE_PGM_RSRC2:TGID_Y_EN: 0
; COMPUTE_PGM_RSRC2:TGID_Z_EN: 0
; COMPUTE_PGM_RSRC2:TIDIG_COMP_CNT: 0
	.section	.text._ZN9rocsparseL23check_matrix_coo_deviceILj256E21rocsparse_complex_numIfEiiEEvT2_S3_lPKT0_PKT1_PKS3_21rocsparse_index_base_22rocsparse_matrix_type_20rocsparse_fill_mode_23rocsparse_storage_mode_P22rocsparse_data_status_,"axG",@progbits,_ZN9rocsparseL23check_matrix_coo_deviceILj256E21rocsparse_complex_numIfEiiEEvT2_S3_lPKT0_PKT1_PKS3_21rocsparse_index_base_22rocsparse_matrix_type_20rocsparse_fill_mode_23rocsparse_storage_mode_P22rocsparse_data_status_,comdat
	.globl	_ZN9rocsparseL23check_matrix_coo_deviceILj256E21rocsparse_complex_numIfEiiEEvT2_S3_lPKT0_PKT1_PKS3_21rocsparse_index_base_22rocsparse_matrix_type_20rocsparse_fill_mode_23rocsparse_storage_mode_P22rocsparse_data_status_ ; -- Begin function _ZN9rocsparseL23check_matrix_coo_deviceILj256E21rocsparse_complex_numIfEiiEEvT2_S3_lPKT0_PKT1_PKS3_21rocsparse_index_base_22rocsparse_matrix_type_20rocsparse_fill_mode_23rocsparse_storage_mode_P22rocsparse_data_status_
	.p2align	8
	.type	_ZN9rocsparseL23check_matrix_coo_deviceILj256E21rocsparse_complex_numIfEiiEEvT2_S3_lPKT0_PKT1_PKS3_21rocsparse_index_base_22rocsparse_matrix_type_20rocsparse_fill_mode_23rocsparse_storage_mode_P22rocsparse_data_status_,@function
_ZN9rocsparseL23check_matrix_coo_deviceILj256E21rocsparse_complex_numIfEiiEEvT2_S3_lPKT0_PKT1_PKS3_21rocsparse_index_base_22rocsparse_matrix_type_20rocsparse_fill_mode_23rocsparse_storage_mode_P22rocsparse_data_status_: ; @_ZN9rocsparseL23check_matrix_coo_deviceILj256E21rocsparse_complex_numIfEiiEEvT2_S3_lPKT0_PKT1_PKS3_21rocsparse_index_base_22rocsparse_matrix_type_20rocsparse_fill_mode_23rocsparse_storage_mode_P22rocsparse_data_status_
; %bb.0:
	s_load_dwordx2 s[2:3], s[4:5], 0x8
	v_lshl_or_b32 v0, s6, 8, v0
	v_mov_b32_e32 v1, 0
	s_mov_b32 s0, exec_lo
	s_waitcnt lgkmcnt(0)
	v_cmpx_gt_i64_e64 s[2:3], v[0:1]
	s_cbranch_execz .LBB2_24
; %bb.1:
	s_clause 0x1
	s_load_dwordx2 s[6:7], s[4:5], 0x18
	s_load_dwordx2 s[0:1], s[4:5], 0x0
	v_lshlrev_b64 v[4:5], 2, v[0:1]
	s_load_dwordx4 s[8:11], s[4:5], 0x28
	v_mov_b32_e32 v10, 4
	s_waitcnt lgkmcnt(0)
	v_add_co_u32 v2, vcc_lo, s6, v4
	v_add_co_ci_u32_e64 v3, null, s7, v5, vcc_lo
	global_load_dword v8, v[2:3], off
	s_waitcnt vmcnt(0)
	v_subrev_nc_u32_e32 v6, s8, v8
	v_cmp_lt_i32_e32 vcc_lo, -1, v6
	v_cmp_gt_i32_e64 s0, s0, v6
	s_and_b32 s0, vcc_lo, s0
	s_xor_b32 s6, s0, -1
	s_and_saveexec_b32 s7, s0
	s_cbranch_execz .LBB2_22
; %bb.2:
	s_load_dwordx2 s[12:13], s[4:5], 0x20
	v_mov_b32_e32 v10, 4
	s_waitcnt lgkmcnt(0)
	v_add_co_u32 v4, vcc_lo, s12, v4
	v_add_co_ci_u32_e64 v5, null, s13, v5, vcc_lo
	global_load_dword v9, v[4:5], off
	s_waitcnt vmcnt(0)
	v_subrev_nc_u32_e32 v6, s8, v9
	v_cmp_lt_i32_e32 vcc_lo, -1, v6
	v_cmp_gt_i32_e64 s0, s1, v6
	s_and_b32 s0, vcc_lo, s0
	s_xor_b32 s12, s0, -1
	s_and_saveexec_b32 s13, s0
	s_cbranch_execz .LBB2_21
; %bb.3:
	s_load_dwordx2 s[14:15], s[4:5], 0x10
	v_lshlrev_b64 v[6:7], 3, v[0:1]
	v_mov_b32_e32 v10, 1
	s_waitcnt lgkmcnt(0)
	v_add_co_u32 v6, vcc_lo, s14, v6
	v_add_co_ci_u32_e64 v7, null, s15, v7, vcc_lo
	global_load_dwordx2 v[6:7], v[6:7], off
	s_waitcnt vmcnt(0)
	v_cmp_eq_f32_e32 vcc_lo, 0x7f800000, v6
	v_cmp_eq_f32_e64 s0, 0x7f800000, v7
	s_or_b32 s14, vcc_lo, s0
	s_mov_b32 s0, -1
	s_xor_b32 s16, s14, -1
	s_and_saveexec_b32 s15, s16
	s_cbranch_execz .LBB2_20
; %bb.4:
	v_mov_b32_e32 v10, 2
	s_mov_b32 s16, exec_lo
	v_cmpx_o_f32_e32 v6, v7
	s_cbranch_execz .LBB2_19
; %bb.5:
	s_cmp_lg_u32 s9, 0
	s_mov_b32 s18, 0
	s_cbranch_scc0 .LBB2_8
; %bb.6:
	s_cmp_lg_u32 s10, 0
	s_mov_b32 s0, 0
	s_cbranch_scc0 .LBB2_9
; %bb.7:
	v_cmp_le_i32_e32 vcc_lo, v8, v9
	s_mov_b32 s9, -1
	s_mov_b32 s10, 7
	s_and_b32 s18, vcc_lo, exec_lo
	s_branch .LBB2_10
.LBB2_8:
	s_mov_b32 s18, -1
	s_mov_b32 s9, 0
	s_mov_b32 s10, 2
	s_branch .LBB2_12
.LBB2_9:
	s_mov_b32 s0, -1
	s_mov_b32 s10, 2
	s_mov_b32 s9, 0
.LBB2_10:
	s_andn2_b32 vcc_lo, exec_lo, s0
	s_cbranch_vccnz .LBB2_12
; %bb.11:
	v_cmp_lt_i32_e32 vcc_lo, v8, v9
	v_cmp_ge_i32_e64 s0, v8, v9
	s_andn2_b32 s9, s9, exec_lo
	s_andn2_b32 s17, s18, exec_lo
	s_mov_b32 s10, 7
	s_and_b32 s18, vcc_lo, exec_lo
	s_and_b32 s0, s0, exec_lo
	s_or_b32 s9, s9, s18
	s_or_b32 s18, s17, s0
.LBB2_12:
	v_mov_b32_e32 v10, s10
	s_and_saveexec_b32 s17, s18
	s_cbranch_execz .LBB2_18
; %bb.13:
	s_cmp_eq_u32 s11, 0
	v_mov_b32_e32 v10, s10
	s_cselect_b32 s11, -1, 0
	s_add_u32 s2, s2, -1
	s_addc_u32 s3, s3, -1
	s_mov_b32 s0, 0
	v_cmp_gt_u64_e32 vcc_lo, s[2:3], v[0:1]
	s_and_b32 s3, s11, vcc_lo
	s_and_saveexec_b32 s2, s3
	s_cbranch_execz .LBB2_17
; %bb.14:
	global_load_dword v0, v[2:3], off offset:4
	v_mov_b32_e32 v10, s10
	s_mov_b32 s3, exec_lo
	s_waitcnt vmcnt(0)
	v_cmpx_eq_u32_e64 v8, v0
	s_cbranch_execz .LBB2_16
; %bb.15:
	global_load_dword v0, v[4:5], off offset:4
	v_mov_b32_e32 v10, 6
	s_waitcnt vmcnt(0)
	v_subrev_nc_u32_e32 v1, s8, v0
	v_cmp_lt_i32_e32 vcc_lo, -1, v1
	v_cmp_gt_i32_e64 s0, s1, v1
	v_cmp_gt_i32_e64 s1, v9, v0
	s_and_b32 s0, vcc_lo, s0
	s_and_b32 s0, s1, s0
	s_and_b32 s0, s0, exec_lo
.LBB2_16:
	s_or_b32 exec_lo, exec_lo, s3
	s_and_b32 s0, s0, exec_lo
.LBB2_17:
	s_or_b32 exec_lo, exec_lo, s2
	s_andn2_b32 s1, s9, exec_lo
	s_and_b32 s0, s0, exec_lo
	s_or_b32 s9, s1, s0
.LBB2_18:
	s_or_b32 exec_lo, exec_lo, s17
	s_orn2_b32 s0, s9, exec_lo
.LBB2_19:
	s_or_b32 exec_lo, exec_lo, s16
	s_andn2_b32 s1, s14, exec_lo
	s_and_b32 s0, s0, exec_lo
	s_or_b32 s14, s1, s0
.LBB2_20:
	s_or_b32 exec_lo, exec_lo, s15
	s_andn2_b32 s0, s12, exec_lo
	s_and_b32 s1, s14, exec_lo
	s_or_b32 s12, s0, s1
.LBB2_21:
	s_or_b32 exec_lo, exec_lo, s13
	s_andn2_b32 s0, s6, exec_lo
	s_and_b32 s1, s12, exec_lo
	s_or_b32 s6, s0, s1
.LBB2_22:
	s_or_b32 exec_lo, exec_lo, s7
	s_and_b32 exec_lo, exec_lo, s6
	s_cbranch_execz .LBB2_24
; %bb.23:
	s_load_dwordx2 s[0:1], s[4:5], 0x38
	v_mov_b32_e32 v0, 0
	s_waitcnt lgkmcnt(0)
	global_store_dword v0, v10, s[0:1]
.LBB2_24:
	s_endpgm
	.section	.rodata,"a",@progbits
	.p2align	6, 0x0
	.amdhsa_kernel _ZN9rocsparseL23check_matrix_coo_deviceILj256E21rocsparse_complex_numIfEiiEEvT2_S3_lPKT0_PKT1_PKS3_21rocsparse_index_base_22rocsparse_matrix_type_20rocsparse_fill_mode_23rocsparse_storage_mode_P22rocsparse_data_status_
		.amdhsa_group_segment_fixed_size 0
		.amdhsa_private_segment_fixed_size 0
		.amdhsa_kernarg_size 64
		.amdhsa_user_sgpr_count 6
		.amdhsa_user_sgpr_private_segment_buffer 1
		.amdhsa_user_sgpr_dispatch_ptr 0
		.amdhsa_user_sgpr_queue_ptr 0
		.amdhsa_user_sgpr_kernarg_segment_ptr 1
		.amdhsa_user_sgpr_dispatch_id 0
		.amdhsa_user_sgpr_flat_scratch_init 0
		.amdhsa_user_sgpr_private_segment_size 0
		.amdhsa_wavefront_size32 1
		.amdhsa_uses_dynamic_stack 0
		.amdhsa_system_sgpr_private_segment_wavefront_offset 0
		.amdhsa_system_sgpr_workgroup_id_x 1
		.amdhsa_system_sgpr_workgroup_id_y 0
		.amdhsa_system_sgpr_workgroup_id_z 0
		.amdhsa_system_sgpr_workgroup_info 0
		.amdhsa_system_vgpr_workitem_id 0
		.amdhsa_next_free_vgpr 11
		.amdhsa_next_free_sgpr 19
		.amdhsa_reserve_vcc 1
		.amdhsa_reserve_flat_scratch 0
		.amdhsa_float_round_mode_32 0
		.amdhsa_float_round_mode_16_64 0
		.amdhsa_float_denorm_mode_32 3
		.amdhsa_float_denorm_mode_16_64 3
		.amdhsa_dx10_clamp 1
		.amdhsa_ieee_mode 1
		.amdhsa_fp16_overflow 0
		.amdhsa_workgroup_processor_mode 1
		.amdhsa_memory_ordered 1
		.amdhsa_forward_progress 1
		.amdhsa_shared_vgpr_count 0
		.amdhsa_exception_fp_ieee_invalid_op 0
		.amdhsa_exception_fp_denorm_src 0
		.amdhsa_exception_fp_ieee_div_zero 0
		.amdhsa_exception_fp_ieee_overflow 0
		.amdhsa_exception_fp_ieee_underflow 0
		.amdhsa_exception_fp_ieee_inexact 0
		.amdhsa_exception_int_div_zero 0
	.end_amdhsa_kernel
	.section	.text._ZN9rocsparseL23check_matrix_coo_deviceILj256E21rocsparse_complex_numIfEiiEEvT2_S3_lPKT0_PKT1_PKS3_21rocsparse_index_base_22rocsparse_matrix_type_20rocsparse_fill_mode_23rocsparse_storage_mode_P22rocsparse_data_status_,"axG",@progbits,_ZN9rocsparseL23check_matrix_coo_deviceILj256E21rocsparse_complex_numIfEiiEEvT2_S3_lPKT0_PKT1_PKS3_21rocsparse_index_base_22rocsparse_matrix_type_20rocsparse_fill_mode_23rocsparse_storage_mode_P22rocsparse_data_status_,comdat
.Lfunc_end2:
	.size	_ZN9rocsparseL23check_matrix_coo_deviceILj256E21rocsparse_complex_numIfEiiEEvT2_S3_lPKT0_PKT1_PKS3_21rocsparse_index_base_22rocsparse_matrix_type_20rocsparse_fill_mode_23rocsparse_storage_mode_P22rocsparse_data_status_, .Lfunc_end2-_ZN9rocsparseL23check_matrix_coo_deviceILj256E21rocsparse_complex_numIfEiiEEvT2_S3_lPKT0_PKT1_PKS3_21rocsparse_index_base_22rocsparse_matrix_type_20rocsparse_fill_mode_23rocsparse_storage_mode_P22rocsparse_data_status_
                                        ; -- End function
	.set _ZN9rocsparseL23check_matrix_coo_deviceILj256E21rocsparse_complex_numIfEiiEEvT2_S3_lPKT0_PKT1_PKS3_21rocsparse_index_base_22rocsparse_matrix_type_20rocsparse_fill_mode_23rocsparse_storage_mode_P22rocsparse_data_status_.num_vgpr, 11
	.set _ZN9rocsparseL23check_matrix_coo_deviceILj256E21rocsparse_complex_numIfEiiEEvT2_S3_lPKT0_PKT1_PKS3_21rocsparse_index_base_22rocsparse_matrix_type_20rocsparse_fill_mode_23rocsparse_storage_mode_P22rocsparse_data_status_.num_agpr, 0
	.set _ZN9rocsparseL23check_matrix_coo_deviceILj256E21rocsparse_complex_numIfEiiEEvT2_S3_lPKT0_PKT1_PKS3_21rocsparse_index_base_22rocsparse_matrix_type_20rocsparse_fill_mode_23rocsparse_storage_mode_P22rocsparse_data_status_.numbered_sgpr, 19
	.set _ZN9rocsparseL23check_matrix_coo_deviceILj256E21rocsparse_complex_numIfEiiEEvT2_S3_lPKT0_PKT1_PKS3_21rocsparse_index_base_22rocsparse_matrix_type_20rocsparse_fill_mode_23rocsparse_storage_mode_P22rocsparse_data_status_.num_named_barrier, 0
	.set _ZN9rocsparseL23check_matrix_coo_deviceILj256E21rocsparse_complex_numIfEiiEEvT2_S3_lPKT0_PKT1_PKS3_21rocsparse_index_base_22rocsparse_matrix_type_20rocsparse_fill_mode_23rocsparse_storage_mode_P22rocsparse_data_status_.private_seg_size, 0
	.set _ZN9rocsparseL23check_matrix_coo_deviceILj256E21rocsparse_complex_numIfEiiEEvT2_S3_lPKT0_PKT1_PKS3_21rocsparse_index_base_22rocsparse_matrix_type_20rocsparse_fill_mode_23rocsparse_storage_mode_P22rocsparse_data_status_.uses_vcc, 1
	.set _ZN9rocsparseL23check_matrix_coo_deviceILj256E21rocsparse_complex_numIfEiiEEvT2_S3_lPKT0_PKT1_PKS3_21rocsparse_index_base_22rocsparse_matrix_type_20rocsparse_fill_mode_23rocsparse_storage_mode_P22rocsparse_data_status_.uses_flat_scratch, 0
	.set _ZN9rocsparseL23check_matrix_coo_deviceILj256E21rocsparse_complex_numIfEiiEEvT2_S3_lPKT0_PKT1_PKS3_21rocsparse_index_base_22rocsparse_matrix_type_20rocsparse_fill_mode_23rocsparse_storage_mode_P22rocsparse_data_status_.has_dyn_sized_stack, 0
	.set _ZN9rocsparseL23check_matrix_coo_deviceILj256E21rocsparse_complex_numIfEiiEEvT2_S3_lPKT0_PKT1_PKS3_21rocsparse_index_base_22rocsparse_matrix_type_20rocsparse_fill_mode_23rocsparse_storage_mode_P22rocsparse_data_status_.has_recursion, 0
	.set _ZN9rocsparseL23check_matrix_coo_deviceILj256E21rocsparse_complex_numIfEiiEEvT2_S3_lPKT0_PKT1_PKS3_21rocsparse_index_base_22rocsparse_matrix_type_20rocsparse_fill_mode_23rocsparse_storage_mode_P22rocsparse_data_status_.has_indirect_call, 0
	.section	.AMDGPU.csdata,"",@progbits
; Kernel info:
; codeLenInByte = 704
; TotalNumSgprs: 21
; NumVgprs: 11
; ScratchSize: 0
; MemoryBound: 0
; FloatMode: 240
; IeeeMode: 1
; LDSByteSize: 0 bytes/workgroup (compile time only)
; SGPRBlocks: 0
; VGPRBlocks: 1
; NumSGPRsForWavesPerEU: 21
; NumVGPRsForWavesPerEU: 11
; Occupancy: 16
; WaveLimiterHint : 0
; COMPUTE_PGM_RSRC2:SCRATCH_EN: 0
; COMPUTE_PGM_RSRC2:USER_SGPR: 6
; COMPUTE_PGM_RSRC2:TRAP_HANDLER: 0
; COMPUTE_PGM_RSRC2:TGID_X_EN: 1
; COMPUTE_PGM_RSRC2:TGID_Y_EN: 0
; COMPUTE_PGM_RSRC2:TGID_Z_EN: 0
; COMPUTE_PGM_RSRC2:TIDIG_COMP_CNT: 0
	.section	.text._ZN9rocsparseL23check_matrix_coo_deviceILj256E21rocsparse_complex_numIdEiiEEvT2_S3_lPKT0_PKT1_PKS3_21rocsparse_index_base_22rocsparse_matrix_type_20rocsparse_fill_mode_23rocsparse_storage_mode_P22rocsparse_data_status_,"axG",@progbits,_ZN9rocsparseL23check_matrix_coo_deviceILj256E21rocsparse_complex_numIdEiiEEvT2_S3_lPKT0_PKT1_PKS3_21rocsparse_index_base_22rocsparse_matrix_type_20rocsparse_fill_mode_23rocsparse_storage_mode_P22rocsparse_data_status_,comdat
	.globl	_ZN9rocsparseL23check_matrix_coo_deviceILj256E21rocsparse_complex_numIdEiiEEvT2_S3_lPKT0_PKT1_PKS3_21rocsparse_index_base_22rocsparse_matrix_type_20rocsparse_fill_mode_23rocsparse_storage_mode_P22rocsparse_data_status_ ; -- Begin function _ZN9rocsparseL23check_matrix_coo_deviceILj256E21rocsparse_complex_numIdEiiEEvT2_S3_lPKT0_PKT1_PKS3_21rocsparse_index_base_22rocsparse_matrix_type_20rocsparse_fill_mode_23rocsparse_storage_mode_P22rocsparse_data_status_
	.p2align	8
	.type	_ZN9rocsparseL23check_matrix_coo_deviceILj256E21rocsparse_complex_numIdEiiEEvT2_S3_lPKT0_PKT1_PKS3_21rocsparse_index_base_22rocsparse_matrix_type_20rocsparse_fill_mode_23rocsparse_storage_mode_P22rocsparse_data_status_,@function
_ZN9rocsparseL23check_matrix_coo_deviceILj256E21rocsparse_complex_numIdEiiEEvT2_S3_lPKT0_PKT1_PKS3_21rocsparse_index_base_22rocsparse_matrix_type_20rocsparse_fill_mode_23rocsparse_storage_mode_P22rocsparse_data_status_: ; @_ZN9rocsparseL23check_matrix_coo_deviceILj256E21rocsparse_complex_numIdEiiEEvT2_S3_lPKT0_PKT1_PKS3_21rocsparse_index_base_22rocsparse_matrix_type_20rocsparse_fill_mode_23rocsparse_storage_mode_P22rocsparse_data_status_
; %bb.0:
	s_load_dwordx2 s[2:3], s[4:5], 0x8
	v_lshl_or_b32 v4, s6, 8, v0
	v_mov_b32_e32 v5, 0
	s_mov_b32 s0, exec_lo
	s_waitcnt lgkmcnt(0)
	v_cmpx_gt_i64_e64 s[2:3], v[4:5]
	s_cbranch_execz .LBB3_24
; %bb.1:
	s_clause 0x1
	s_load_dwordx2 s[6:7], s[4:5], 0x18
	s_load_dwordx2 s[0:1], s[4:5], 0x0
	v_lshlrev_b64 v[0:1], 2, v[4:5]
	s_load_dwordx4 s[8:11], s[4:5], 0x28
	v_mov_b32_e32 v12, 4
	s_waitcnt lgkmcnt(0)
	v_add_co_u32 v6, vcc_lo, s6, v0
	v_add_co_ci_u32_e64 v7, null, s7, v1, vcc_lo
	global_load_dword v10, v[6:7], off
	s_waitcnt vmcnt(0)
	v_subrev_nc_u32_e32 v2, s8, v10
	v_cmp_lt_i32_e32 vcc_lo, -1, v2
	v_cmp_gt_i32_e64 s0, s0, v2
	s_and_b32 s0, vcc_lo, s0
	s_xor_b32 s6, s0, -1
	s_and_saveexec_b32 s7, s0
	s_cbranch_execz .LBB3_22
; %bb.2:
	s_load_dwordx2 s[12:13], s[4:5], 0x20
	v_mov_b32_e32 v12, 4
	s_waitcnt lgkmcnt(0)
	v_add_co_u32 v8, vcc_lo, s12, v0
	v_add_co_ci_u32_e64 v9, null, s13, v1, vcc_lo
	global_load_dword v11, v[8:9], off
	s_waitcnt vmcnt(0)
	v_subrev_nc_u32_e32 v0, s8, v11
	v_cmp_lt_i32_e32 vcc_lo, -1, v0
	v_cmp_gt_i32_e64 s0, s1, v0
	s_and_b32 s0, vcc_lo, s0
	s_xor_b32 s12, s0, -1
	s_and_saveexec_b32 s13, s0
	s_cbranch_execz .LBB3_21
; %bb.3:
	s_load_dwordx2 s[14:15], s[4:5], 0x10
	v_lshlrev_b64 v[0:1], 4, v[4:5]
	v_mov_b32_e32 v12, 1
	s_waitcnt lgkmcnt(0)
	v_add_co_u32 v0, vcc_lo, s14, v0
	v_add_co_ci_u32_e64 v1, null, s15, v1, vcc_lo
	global_load_dwordx4 v[0:3], v[0:1], off
	s_waitcnt vmcnt(0)
	v_cmp_eq_f64_e32 vcc_lo, 0x7ff00000, v[0:1]
	v_cmp_eq_f64_e64 s0, 0x7ff00000, v[2:3]
	s_or_b32 s14, vcc_lo, s0
	s_mov_b32 s0, -1
	s_xor_b32 s16, s14, -1
	s_and_saveexec_b32 s15, s16
	s_cbranch_execz .LBB3_20
; %bb.4:
	v_mov_b32_e32 v12, 2
	s_mov_b32 s16, exec_lo
	v_cmpx_o_f64_e32 v[0:1], v[2:3]
	s_cbranch_execz .LBB3_19
; %bb.5:
	s_cmp_lg_u32 s9, 0
	s_mov_b32 s18, 0
	s_cbranch_scc0 .LBB3_8
; %bb.6:
	s_cmp_lg_u32 s10, 0
	s_mov_b32 s0, 0
	s_cbranch_scc0 .LBB3_9
; %bb.7:
	v_cmp_le_i32_e32 vcc_lo, v10, v11
	s_mov_b32 s9, -1
	s_mov_b32 s10, 7
	s_and_b32 s18, vcc_lo, exec_lo
	s_branch .LBB3_10
.LBB3_8:
	s_mov_b32 s18, -1
	s_mov_b32 s9, 0
	s_mov_b32 s10, 2
	s_branch .LBB3_12
.LBB3_9:
	s_mov_b32 s0, -1
	s_mov_b32 s10, 2
	s_mov_b32 s9, 0
.LBB3_10:
	s_andn2_b32 vcc_lo, exec_lo, s0
	s_cbranch_vccnz .LBB3_12
; %bb.11:
	v_cmp_lt_i32_e32 vcc_lo, v10, v11
	v_cmp_ge_i32_e64 s0, v10, v11
	s_andn2_b32 s9, s9, exec_lo
	s_andn2_b32 s17, s18, exec_lo
	s_mov_b32 s10, 7
	s_and_b32 s18, vcc_lo, exec_lo
	s_and_b32 s0, s0, exec_lo
	s_or_b32 s9, s9, s18
	s_or_b32 s18, s17, s0
.LBB3_12:
	v_mov_b32_e32 v12, s10
	s_and_saveexec_b32 s17, s18
	s_cbranch_execz .LBB3_18
; %bb.13:
	s_cmp_eq_u32 s11, 0
	v_mov_b32_e32 v12, s10
	s_cselect_b32 s11, -1, 0
	s_add_u32 s2, s2, -1
	s_addc_u32 s3, s3, -1
	s_mov_b32 s0, 0
	v_cmp_gt_u64_e32 vcc_lo, s[2:3], v[4:5]
	s_and_b32 s3, s11, vcc_lo
	s_and_saveexec_b32 s2, s3
	s_cbranch_execz .LBB3_17
; %bb.14:
	global_load_dword v0, v[6:7], off offset:4
	v_mov_b32_e32 v12, s10
	s_mov_b32 s3, exec_lo
	s_waitcnt vmcnt(0)
	v_cmpx_eq_u32_e64 v10, v0
	s_cbranch_execz .LBB3_16
; %bb.15:
	global_load_dword v0, v[8:9], off offset:4
	v_mov_b32_e32 v12, 6
	s_waitcnt vmcnt(0)
	v_subrev_nc_u32_e32 v1, s8, v0
	v_cmp_lt_i32_e32 vcc_lo, -1, v1
	v_cmp_gt_i32_e64 s0, s1, v1
	v_cmp_gt_i32_e64 s1, v11, v0
	s_and_b32 s0, vcc_lo, s0
	s_and_b32 s0, s1, s0
	s_and_b32 s0, s0, exec_lo
.LBB3_16:
	s_or_b32 exec_lo, exec_lo, s3
	s_and_b32 s0, s0, exec_lo
.LBB3_17:
	s_or_b32 exec_lo, exec_lo, s2
	s_andn2_b32 s1, s9, exec_lo
	s_and_b32 s0, s0, exec_lo
	s_or_b32 s9, s1, s0
.LBB3_18:
	s_or_b32 exec_lo, exec_lo, s17
	s_orn2_b32 s0, s9, exec_lo
.LBB3_19:
	s_or_b32 exec_lo, exec_lo, s16
	s_andn2_b32 s1, s14, exec_lo
	s_and_b32 s0, s0, exec_lo
	s_or_b32 s14, s1, s0
.LBB3_20:
	s_or_b32 exec_lo, exec_lo, s15
	s_andn2_b32 s0, s12, exec_lo
	s_and_b32 s1, s14, exec_lo
	s_or_b32 s12, s0, s1
.LBB3_21:
	s_or_b32 exec_lo, exec_lo, s13
	s_andn2_b32 s0, s6, exec_lo
	s_and_b32 s1, s12, exec_lo
	s_or_b32 s6, s0, s1
.LBB3_22:
	s_or_b32 exec_lo, exec_lo, s7
	s_and_b32 exec_lo, exec_lo, s6
	s_cbranch_execz .LBB3_24
; %bb.23:
	s_load_dwordx2 s[0:1], s[4:5], 0x38
	v_mov_b32_e32 v0, 0
	s_waitcnt lgkmcnt(0)
	global_store_dword v0, v12, s[0:1]
.LBB3_24:
	s_endpgm
	.section	.rodata,"a",@progbits
	.p2align	6, 0x0
	.amdhsa_kernel _ZN9rocsparseL23check_matrix_coo_deviceILj256E21rocsparse_complex_numIdEiiEEvT2_S3_lPKT0_PKT1_PKS3_21rocsparse_index_base_22rocsparse_matrix_type_20rocsparse_fill_mode_23rocsparse_storage_mode_P22rocsparse_data_status_
		.amdhsa_group_segment_fixed_size 0
		.amdhsa_private_segment_fixed_size 0
		.amdhsa_kernarg_size 64
		.amdhsa_user_sgpr_count 6
		.amdhsa_user_sgpr_private_segment_buffer 1
		.amdhsa_user_sgpr_dispatch_ptr 0
		.amdhsa_user_sgpr_queue_ptr 0
		.amdhsa_user_sgpr_kernarg_segment_ptr 1
		.amdhsa_user_sgpr_dispatch_id 0
		.amdhsa_user_sgpr_flat_scratch_init 0
		.amdhsa_user_sgpr_private_segment_size 0
		.amdhsa_wavefront_size32 1
		.amdhsa_uses_dynamic_stack 0
		.amdhsa_system_sgpr_private_segment_wavefront_offset 0
		.amdhsa_system_sgpr_workgroup_id_x 1
		.amdhsa_system_sgpr_workgroup_id_y 0
		.amdhsa_system_sgpr_workgroup_id_z 0
		.amdhsa_system_sgpr_workgroup_info 0
		.amdhsa_system_vgpr_workitem_id 0
		.amdhsa_next_free_vgpr 13
		.amdhsa_next_free_sgpr 19
		.amdhsa_reserve_vcc 1
		.amdhsa_reserve_flat_scratch 0
		.amdhsa_float_round_mode_32 0
		.amdhsa_float_round_mode_16_64 0
		.amdhsa_float_denorm_mode_32 3
		.amdhsa_float_denorm_mode_16_64 3
		.amdhsa_dx10_clamp 1
		.amdhsa_ieee_mode 1
		.amdhsa_fp16_overflow 0
		.amdhsa_workgroup_processor_mode 1
		.amdhsa_memory_ordered 1
		.amdhsa_forward_progress 1
		.amdhsa_shared_vgpr_count 0
		.amdhsa_exception_fp_ieee_invalid_op 0
		.amdhsa_exception_fp_denorm_src 0
		.amdhsa_exception_fp_ieee_div_zero 0
		.amdhsa_exception_fp_ieee_overflow 0
		.amdhsa_exception_fp_ieee_underflow 0
		.amdhsa_exception_fp_ieee_inexact 0
		.amdhsa_exception_int_div_zero 0
	.end_amdhsa_kernel
	.section	.text._ZN9rocsparseL23check_matrix_coo_deviceILj256E21rocsparse_complex_numIdEiiEEvT2_S3_lPKT0_PKT1_PKS3_21rocsparse_index_base_22rocsparse_matrix_type_20rocsparse_fill_mode_23rocsparse_storage_mode_P22rocsparse_data_status_,"axG",@progbits,_ZN9rocsparseL23check_matrix_coo_deviceILj256E21rocsparse_complex_numIdEiiEEvT2_S3_lPKT0_PKT1_PKS3_21rocsparse_index_base_22rocsparse_matrix_type_20rocsparse_fill_mode_23rocsparse_storage_mode_P22rocsparse_data_status_,comdat
.Lfunc_end3:
	.size	_ZN9rocsparseL23check_matrix_coo_deviceILj256E21rocsparse_complex_numIdEiiEEvT2_S3_lPKT0_PKT1_PKS3_21rocsparse_index_base_22rocsparse_matrix_type_20rocsparse_fill_mode_23rocsparse_storage_mode_P22rocsparse_data_status_, .Lfunc_end3-_ZN9rocsparseL23check_matrix_coo_deviceILj256E21rocsparse_complex_numIdEiiEEvT2_S3_lPKT0_PKT1_PKS3_21rocsparse_index_base_22rocsparse_matrix_type_20rocsparse_fill_mode_23rocsparse_storage_mode_P22rocsparse_data_status_
                                        ; -- End function
	.set _ZN9rocsparseL23check_matrix_coo_deviceILj256E21rocsparse_complex_numIdEiiEEvT2_S3_lPKT0_PKT1_PKS3_21rocsparse_index_base_22rocsparse_matrix_type_20rocsparse_fill_mode_23rocsparse_storage_mode_P22rocsparse_data_status_.num_vgpr, 13
	.set _ZN9rocsparseL23check_matrix_coo_deviceILj256E21rocsparse_complex_numIdEiiEEvT2_S3_lPKT0_PKT1_PKS3_21rocsparse_index_base_22rocsparse_matrix_type_20rocsparse_fill_mode_23rocsparse_storage_mode_P22rocsparse_data_status_.num_agpr, 0
	.set _ZN9rocsparseL23check_matrix_coo_deviceILj256E21rocsparse_complex_numIdEiiEEvT2_S3_lPKT0_PKT1_PKS3_21rocsparse_index_base_22rocsparse_matrix_type_20rocsparse_fill_mode_23rocsparse_storage_mode_P22rocsparse_data_status_.numbered_sgpr, 19
	.set _ZN9rocsparseL23check_matrix_coo_deviceILj256E21rocsparse_complex_numIdEiiEEvT2_S3_lPKT0_PKT1_PKS3_21rocsparse_index_base_22rocsparse_matrix_type_20rocsparse_fill_mode_23rocsparse_storage_mode_P22rocsparse_data_status_.num_named_barrier, 0
	.set _ZN9rocsparseL23check_matrix_coo_deviceILj256E21rocsparse_complex_numIdEiiEEvT2_S3_lPKT0_PKT1_PKS3_21rocsparse_index_base_22rocsparse_matrix_type_20rocsparse_fill_mode_23rocsparse_storage_mode_P22rocsparse_data_status_.private_seg_size, 0
	.set _ZN9rocsparseL23check_matrix_coo_deviceILj256E21rocsparse_complex_numIdEiiEEvT2_S3_lPKT0_PKT1_PKS3_21rocsparse_index_base_22rocsparse_matrix_type_20rocsparse_fill_mode_23rocsparse_storage_mode_P22rocsparse_data_status_.uses_vcc, 1
	.set _ZN9rocsparseL23check_matrix_coo_deviceILj256E21rocsparse_complex_numIdEiiEEvT2_S3_lPKT0_PKT1_PKS3_21rocsparse_index_base_22rocsparse_matrix_type_20rocsparse_fill_mode_23rocsparse_storage_mode_P22rocsparse_data_status_.uses_flat_scratch, 0
	.set _ZN9rocsparseL23check_matrix_coo_deviceILj256E21rocsparse_complex_numIdEiiEEvT2_S3_lPKT0_PKT1_PKS3_21rocsparse_index_base_22rocsparse_matrix_type_20rocsparse_fill_mode_23rocsparse_storage_mode_P22rocsparse_data_status_.has_dyn_sized_stack, 0
	.set _ZN9rocsparseL23check_matrix_coo_deviceILj256E21rocsparse_complex_numIdEiiEEvT2_S3_lPKT0_PKT1_PKS3_21rocsparse_index_base_22rocsparse_matrix_type_20rocsparse_fill_mode_23rocsparse_storage_mode_P22rocsparse_data_status_.has_recursion, 0
	.set _ZN9rocsparseL23check_matrix_coo_deviceILj256E21rocsparse_complex_numIdEiiEEvT2_S3_lPKT0_PKT1_PKS3_21rocsparse_index_base_22rocsparse_matrix_type_20rocsparse_fill_mode_23rocsparse_storage_mode_P22rocsparse_data_status_.has_indirect_call, 0
	.section	.AMDGPU.csdata,"",@progbits
; Kernel info:
; codeLenInByte = 704
; TotalNumSgprs: 21
; NumVgprs: 13
; ScratchSize: 0
; MemoryBound: 0
; FloatMode: 240
; IeeeMode: 1
; LDSByteSize: 0 bytes/workgroup (compile time only)
; SGPRBlocks: 0
; VGPRBlocks: 1
; NumSGPRsForWavesPerEU: 21
; NumVGPRsForWavesPerEU: 13
; Occupancy: 16
; WaveLimiterHint : 0
; COMPUTE_PGM_RSRC2:SCRATCH_EN: 0
; COMPUTE_PGM_RSRC2:USER_SGPR: 6
; COMPUTE_PGM_RSRC2:TRAP_HANDLER: 0
; COMPUTE_PGM_RSRC2:TGID_X_EN: 1
; COMPUTE_PGM_RSRC2:TGID_Y_EN: 0
; COMPUTE_PGM_RSRC2:TGID_Z_EN: 0
; COMPUTE_PGM_RSRC2:TIDIG_COMP_CNT: 0
	.section	.text._ZN9rocsparseL23check_matrix_coo_deviceILj256EfllEEvT2_S1_lPKT0_PKT1_PKS1_21rocsparse_index_base_22rocsparse_matrix_type_20rocsparse_fill_mode_23rocsparse_storage_mode_P22rocsparse_data_status_,"axG",@progbits,_ZN9rocsparseL23check_matrix_coo_deviceILj256EfllEEvT2_S1_lPKT0_PKT1_PKS1_21rocsparse_index_base_22rocsparse_matrix_type_20rocsparse_fill_mode_23rocsparse_storage_mode_P22rocsparse_data_status_,comdat
	.globl	_ZN9rocsparseL23check_matrix_coo_deviceILj256EfllEEvT2_S1_lPKT0_PKT1_PKS1_21rocsparse_index_base_22rocsparse_matrix_type_20rocsparse_fill_mode_23rocsparse_storage_mode_P22rocsparse_data_status_ ; -- Begin function _ZN9rocsparseL23check_matrix_coo_deviceILj256EfllEEvT2_S1_lPKT0_PKT1_PKS1_21rocsparse_index_base_22rocsparse_matrix_type_20rocsparse_fill_mode_23rocsparse_storage_mode_P22rocsparse_data_status_
	.p2align	8
	.type	_ZN9rocsparseL23check_matrix_coo_deviceILj256EfllEEvT2_S1_lPKT0_PKT1_PKS1_21rocsparse_index_base_22rocsparse_matrix_type_20rocsparse_fill_mode_23rocsparse_storage_mode_P22rocsparse_data_status_,@function
_ZN9rocsparseL23check_matrix_coo_deviceILj256EfllEEvT2_S1_lPKT0_PKT1_PKS1_21rocsparse_index_base_22rocsparse_matrix_type_20rocsparse_fill_mode_23rocsparse_storage_mode_P22rocsparse_data_status_: ; @_ZN9rocsparseL23check_matrix_coo_deviceILj256EfllEEvT2_S1_lPKT0_PKT1_PKS1_21rocsparse_index_base_22rocsparse_matrix_type_20rocsparse_fill_mode_23rocsparse_storage_mode_P22rocsparse_data_status_
; %bb.0:
	s_load_dwordx2 s[12:13], s[4:5], 0x10
	v_lshl_or_b32 v0, s6, 8, v0
	v_mov_b32_e32 v1, 0
	s_mov_b32 s0, exec_lo
	s_waitcnt lgkmcnt(0)
	v_cmpx_gt_i64_e64 s[12:13], v[0:1]
	s_cbranch_execz .LBB4_24
; %bb.1:
	s_load_dwordx2 s[0:1], s[4:5], 0x20
	v_lshlrev_b64 v[6:7], 3, v[0:1]
	v_mov_b32_e32 v10, 4
	s_waitcnt lgkmcnt(0)
	v_add_co_u32 v2, vcc_lo, s0, v6
	v_add_co_ci_u32_e64 v3, null, s1, v7, vcc_lo
	global_load_dwordx2 v[4:5], v[2:3], off
	s_clause 0x1
	s_load_dwordx4 s[8:11], s[4:5], 0x30
	s_load_dwordx4 s[0:3], s[4:5], 0x0
	s_waitcnt vmcnt(0) lgkmcnt(0)
	v_sub_co_u32 v8, vcc_lo, v4, s8
	v_subrev_co_ci_u32_e64 v9, null, 0, v5, vcc_lo
	v_cmp_lt_i64_e32 vcc_lo, -1, v[8:9]
	v_cmp_gt_i64_e64 s0, s[0:1], v[8:9]
	s_and_b32 s0, vcc_lo, s0
	s_xor_b32 s6, s0, -1
	s_and_saveexec_b32 s7, s0
	s_cbranch_execz .LBB4_22
; %bb.2:
	s_load_dwordx2 s[0:1], s[4:5], 0x28
	s_waitcnt lgkmcnt(0)
	v_add_co_u32 v8, vcc_lo, s0, v6
	v_add_co_ci_u32_e64 v9, null, s1, v7, vcc_lo
	global_load_dwordx2 v[6:7], v[8:9], off
	s_waitcnt vmcnt(0)
	v_sub_co_u32 v10, vcc_lo, v6, s8
	v_subrev_co_ci_u32_e64 v11, null, 0, v7, vcc_lo
	v_cmp_lt_i64_e32 vcc_lo, -1, v[10:11]
	v_cmp_gt_i64_e64 s0, s[2:3], v[10:11]
	v_mov_b32_e32 v10, 4
	s_and_b32 s0, vcc_lo, s0
	s_xor_b32 s14, s0, -1
	s_and_saveexec_b32 s15, s0
	s_cbranch_execz .LBB4_21
; %bb.3:
	s_load_dwordx2 s[0:1], s[4:5], 0x18
	v_lshlrev_b64 v[10:11], 2, v[0:1]
	s_mov_b32 s16, exec_lo
	s_waitcnt lgkmcnt(0)
	v_add_co_u32 v10, vcc_lo, s0, v10
	v_add_co_ci_u32_e64 v11, null, s1, v11, vcc_lo
	global_load_dword v11, v[10:11], off
	v_mov_b32_e32 v10, 1
	s_waitcnt vmcnt(0)
	v_cmp_eq_f32_e64 s0, 0x7f800000, v11
	v_cmpx_neq_f32_e32 0x7f800000, v11
	s_cbranch_execz .LBB4_20
; %bb.4:
	v_mov_b32_e32 v10, 2
	s_mov_b32 s1, -1
	s_mov_b32 s17, exec_lo
	v_cmpx_o_f32_e32 v11, v11
	s_cbranch_execz .LBB4_19
; %bb.5:
	s_cmp_lg_u32 s9, 0
	s_mov_b32 s19, 0
	s_cbranch_scc0 .LBB4_8
; %bb.6:
	s_cmp_lg_u32 s10, 0
	s_mov_b32 s1, 0
	s_cbranch_scc0 .LBB4_9
; %bb.7:
	v_cmp_le_i64_e32 vcc_lo, v[4:5], v[6:7]
	s_mov_b32 s9, -1
	s_mov_b32 s10, 7
	s_and_b32 s19, vcc_lo, exec_lo
	s_branch .LBB4_10
.LBB4_8:
	s_mov_b32 s19, -1
	s_mov_b32 s9, 0
	s_mov_b32 s10, 2
	s_branch .LBB4_12
.LBB4_9:
	s_mov_b32 s1, -1
	s_mov_b32 s10, 2
	s_mov_b32 s9, 0
.LBB4_10:
	s_andn2_b32 vcc_lo, exec_lo, s1
	s_cbranch_vccnz .LBB4_12
; %bb.11:
	v_cmp_lt_i64_e32 vcc_lo, v[4:5], v[6:7]
	v_cmp_ge_i64_e64 s1, v[4:5], v[6:7]
	s_andn2_b32 s9, s9, exec_lo
	s_andn2_b32 s18, s19, exec_lo
	s_mov_b32 s10, 7
	s_and_b32 s19, vcc_lo, exec_lo
	s_and_b32 s1, s1, exec_lo
	s_or_b32 s9, s9, s19
	s_or_b32 s19, s18, s1
.LBB4_12:
	v_mov_b32_e32 v10, s10
	s_and_saveexec_b32 s18, s19
	s_cbranch_execz .LBB4_18
; %bb.13:
	s_cmp_eq_u32 s11, 0
	v_mov_b32_e32 v10, s10
	s_cselect_b32 s11, -1, 0
	s_add_u32 s12, s12, -1
	s_addc_u32 s13, s13, -1
	s_mov_b32 s1, 0
	v_cmp_gt_u64_e32 vcc_lo, s[12:13], v[0:1]
	s_and_b32 s12, s11, vcc_lo
	s_and_saveexec_b32 s11, s12
	s_cbranch_execz .LBB4_17
; %bb.14:
	global_load_dwordx2 v[0:1], v[2:3], off offset:8
	v_mov_b32_e32 v10, s10
	s_mov_b32 s10, exec_lo
	s_waitcnt vmcnt(0)
	v_cmpx_eq_u64_e64 v[4:5], v[0:1]
	s_cbranch_execz .LBB4_16
; %bb.15:
	global_load_dwordx2 v[0:1], v[8:9], off offset:8
	v_mov_b32_e32 v10, 6
	s_waitcnt vmcnt(0)
	v_sub_co_u32 v2, vcc_lo, v0, s8
	v_subrev_co_ci_u32_e64 v3, null, 0, v1, vcc_lo
	v_cmp_lt_i64_e32 vcc_lo, -1, v[2:3]
	v_cmp_gt_i64_e64 s1, s[2:3], v[2:3]
	v_cmp_gt_i64_e64 s2, v[6:7], v[0:1]
	s_and_b32 s1, vcc_lo, s1
	s_and_b32 s1, s2, s1
	s_and_b32 s1, s1, exec_lo
.LBB4_16:
	s_or_b32 exec_lo, exec_lo, s10
	s_and_b32 s1, s1, exec_lo
.LBB4_17:
	s_or_b32 exec_lo, exec_lo, s11
	s_andn2_b32 s2, s9, exec_lo
	s_and_b32 s1, s1, exec_lo
	s_or_b32 s9, s2, s1
.LBB4_18:
	s_or_b32 exec_lo, exec_lo, s18
	s_orn2_b32 s1, s9, exec_lo
.LBB4_19:
	s_or_b32 exec_lo, exec_lo, s17
	s_andn2_b32 s0, s0, exec_lo
	s_and_b32 s1, s1, exec_lo
	s_or_b32 s0, s0, s1
.LBB4_20:
	s_or_b32 exec_lo, exec_lo, s16
	s_andn2_b32 s1, s14, exec_lo
	s_and_b32 s0, s0, exec_lo
	s_or_b32 s14, s1, s0
.LBB4_21:
	s_or_b32 exec_lo, exec_lo, s15
	s_andn2_b32 s0, s6, exec_lo
	s_and_b32 s1, s14, exec_lo
	s_or_b32 s6, s0, s1
.LBB4_22:
	s_or_b32 exec_lo, exec_lo, s7
	s_and_b32 exec_lo, exec_lo, s6
	s_cbranch_execz .LBB4_24
; %bb.23:
	s_load_dwordx2 s[0:1], s[4:5], 0x40
	v_mov_b32_e32 v0, 0
	s_waitcnt lgkmcnt(0)
	global_store_dword v0, v10, s[0:1]
.LBB4_24:
	s_endpgm
	.section	.rodata,"a",@progbits
	.p2align	6, 0x0
	.amdhsa_kernel _ZN9rocsparseL23check_matrix_coo_deviceILj256EfllEEvT2_S1_lPKT0_PKT1_PKS1_21rocsparse_index_base_22rocsparse_matrix_type_20rocsparse_fill_mode_23rocsparse_storage_mode_P22rocsparse_data_status_
		.amdhsa_group_segment_fixed_size 0
		.amdhsa_private_segment_fixed_size 0
		.amdhsa_kernarg_size 72
		.amdhsa_user_sgpr_count 6
		.amdhsa_user_sgpr_private_segment_buffer 1
		.amdhsa_user_sgpr_dispatch_ptr 0
		.amdhsa_user_sgpr_queue_ptr 0
		.amdhsa_user_sgpr_kernarg_segment_ptr 1
		.amdhsa_user_sgpr_dispatch_id 0
		.amdhsa_user_sgpr_flat_scratch_init 0
		.amdhsa_user_sgpr_private_segment_size 0
		.amdhsa_wavefront_size32 1
		.amdhsa_uses_dynamic_stack 0
		.amdhsa_system_sgpr_private_segment_wavefront_offset 0
		.amdhsa_system_sgpr_workgroup_id_x 1
		.amdhsa_system_sgpr_workgroup_id_y 0
		.amdhsa_system_sgpr_workgroup_id_z 0
		.amdhsa_system_sgpr_workgroup_info 0
		.amdhsa_system_vgpr_workitem_id 0
		.amdhsa_next_free_vgpr 12
		.amdhsa_next_free_sgpr 20
		.amdhsa_reserve_vcc 1
		.amdhsa_reserve_flat_scratch 0
		.amdhsa_float_round_mode_32 0
		.amdhsa_float_round_mode_16_64 0
		.amdhsa_float_denorm_mode_32 3
		.amdhsa_float_denorm_mode_16_64 3
		.amdhsa_dx10_clamp 1
		.amdhsa_ieee_mode 1
		.amdhsa_fp16_overflow 0
		.amdhsa_workgroup_processor_mode 1
		.amdhsa_memory_ordered 1
		.amdhsa_forward_progress 1
		.amdhsa_shared_vgpr_count 0
		.amdhsa_exception_fp_ieee_invalid_op 0
		.amdhsa_exception_fp_denorm_src 0
		.amdhsa_exception_fp_ieee_div_zero 0
		.amdhsa_exception_fp_ieee_overflow 0
		.amdhsa_exception_fp_ieee_underflow 0
		.amdhsa_exception_fp_ieee_inexact 0
		.amdhsa_exception_int_div_zero 0
	.end_amdhsa_kernel
	.section	.text._ZN9rocsparseL23check_matrix_coo_deviceILj256EfllEEvT2_S1_lPKT0_PKT1_PKS1_21rocsparse_index_base_22rocsparse_matrix_type_20rocsparse_fill_mode_23rocsparse_storage_mode_P22rocsparse_data_status_,"axG",@progbits,_ZN9rocsparseL23check_matrix_coo_deviceILj256EfllEEvT2_S1_lPKT0_PKT1_PKS1_21rocsparse_index_base_22rocsparse_matrix_type_20rocsparse_fill_mode_23rocsparse_storage_mode_P22rocsparse_data_status_,comdat
.Lfunc_end4:
	.size	_ZN9rocsparseL23check_matrix_coo_deviceILj256EfllEEvT2_S1_lPKT0_PKT1_PKS1_21rocsparse_index_base_22rocsparse_matrix_type_20rocsparse_fill_mode_23rocsparse_storage_mode_P22rocsparse_data_status_, .Lfunc_end4-_ZN9rocsparseL23check_matrix_coo_deviceILj256EfllEEvT2_S1_lPKT0_PKT1_PKS1_21rocsparse_index_base_22rocsparse_matrix_type_20rocsparse_fill_mode_23rocsparse_storage_mode_P22rocsparse_data_status_
                                        ; -- End function
	.set _ZN9rocsparseL23check_matrix_coo_deviceILj256EfllEEvT2_S1_lPKT0_PKT1_PKS1_21rocsparse_index_base_22rocsparse_matrix_type_20rocsparse_fill_mode_23rocsparse_storage_mode_P22rocsparse_data_status_.num_vgpr, 12
	.set _ZN9rocsparseL23check_matrix_coo_deviceILj256EfllEEvT2_S1_lPKT0_PKT1_PKS1_21rocsparse_index_base_22rocsparse_matrix_type_20rocsparse_fill_mode_23rocsparse_storage_mode_P22rocsparse_data_status_.num_agpr, 0
	.set _ZN9rocsparseL23check_matrix_coo_deviceILj256EfllEEvT2_S1_lPKT0_PKT1_PKS1_21rocsparse_index_base_22rocsparse_matrix_type_20rocsparse_fill_mode_23rocsparse_storage_mode_P22rocsparse_data_status_.numbered_sgpr, 20
	.set _ZN9rocsparseL23check_matrix_coo_deviceILj256EfllEEvT2_S1_lPKT0_PKT1_PKS1_21rocsparse_index_base_22rocsparse_matrix_type_20rocsparse_fill_mode_23rocsparse_storage_mode_P22rocsparse_data_status_.num_named_barrier, 0
	.set _ZN9rocsparseL23check_matrix_coo_deviceILj256EfllEEvT2_S1_lPKT0_PKT1_PKS1_21rocsparse_index_base_22rocsparse_matrix_type_20rocsparse_fill_mode_23rocsparse_storage_mode_P22rocsparse_data_status_.private_seg_size, 0
	.set _ZN9rocsparseL23check_matrix_coo_deviceILj256EfllEEvT2_S1_lPKT0_PKT1_PKS1_21rocsparse_index_base_22rocsparse_matrix_type_20rocsparse_fill_mode_23rocsparse_storage_mode_P22rocsparse_data_status_.uses_vcc, 1
	.set _ZN9rocsparseL23check_matrix_coo_deviceILj256EfllEEvT2_S1_lPKT0_PKT1_PKS1_21rocsparse_index_base_22rocsparse_matrix_type_20rocsparse_fill_mode_23rocsparse_storage_mode_P22rocsparse_data_status_.uses_flat_scratch, 0
	.set _ZN9rocsparseL23check_matrix_coo_deviceILj256EfllEEvT2_S1_lPKT0_PKT1_PKS1_21rocsparse_index_base_22rocsparse_matrix_type_20rocsparse_fill_mode_23rocsparse_storage_mode_P22rocsparse_data_status_.has_dyn_sized_stack, 0
	.set _ZN9rocsparseL23check_matrix_coo_deviceILj256EfllEEvT2_S1_lPKT0_PKT1_PKS1_21rocsparse_index_base_22rocsparse_matrix_type_20rocsparse_fill_mode_23rocsparse_storage_mode_P22rocsparse_data_status_.has_recursion, 0
	.set _ZN9rocsparseL23check_matrix_coo_deviceILj256EfllEEvT2_S1_lPKT0_PKT1_PKS1_21rocsparse_index_base_22rocsparse_matrix_type_20rocsparse_fill_mode_23rocsparse_storage_mode_P22rocsparse_data_status_.has_indirect_call, 0
	.section	.AMDGPU.csdata,"",@progbits
; Kernel info:
; codeLenInByte = 732
; TotalNumSgprs: 22
; NumVgprs: 12
; ScratchSize: 0
; MemoryBound: 0
; FloatMode: 240
; IeeeMode: 1
; LDSByteSize: 0 bytes/workgroup (compile time only)
; SGPRBlocks: 0
; VGPRBlocks: 1
; NumSGPRsForWavesPerEU: 22
; NumVGPRsForWavesPerEU: 12
; Occupancy: 16
; WaveLimiterHint : 0
; COMPUTE_PGM_RSRC2:SCRATCH_EN: 0
; COMPUTE_PGM_RSRC2:USER_SGPR: 6
; COMPUTE_PGM_RSRC2:TRAP_HANDLER: 0
; COMPUTE_PGM_RSRC2:TGID_X_EN: 1
; COMPUTE_PGM_RSRC2:TGID_Y_EN: 0
; COMPUTE_PGM_RSRC2:TGID_Z_EN: 0
; COMPUTE_PGM_RSRC2:TIDIG_COMP_CNT: 0
	.section	.text._ZN9rocsparseL23check_matrix_coo_deviceILj256EdllEEvT2_S1_lPKT0_PKT1_PKS1_21rocsparse_index_base_22rocsparse_matrix_type_20rocsparse_fill_mode_23rocsparse_storage_mode_P22rocsparse_data_status_,"axG",@progbits,_ZN9rocsparseL23check_matrix_coo_deviceILj256EdllEEvT2_S1_lPKT0_PKT1_PKS1_21rocsparse_index_base_22rocsparse_matrix_type_20rocsparse_fill_mode_23rocsparse_storage_mode_P22rocsparse_data_status_,comdat
	.globl	_ZN9rocsparseL23check_matrix_coo_deviceILj256EdllEEvT2_S1_lPKT0_PKT1_PKS1_21rocsparse_index_base_22rocsparse_matrix_type_20rocsparse_fill_mode_23rocsparse_storage_mode_P22rocsparse_data_status_ ; -- Begin function _ZN9rocsparseL23check_matrix_coo_deviceILj256EdllEEvT2_S1_lPKT0_PKT1_PKS1_21rocsparse_index_base_22rocsparse_matrix_type_20rocsparse_fill_mode_23rocsparse_storage_mode_P22rocsparse_data_status_
	.p2align	8
	.type	_ZN9rocsparseL23check_matrix_coo_deviceILj256EdllEEvT2_S1_lPKT0_PKT1_PKS1_21rocsparse_index_base_22rocsparse_matrix_type_20rocsparse_fill_mode_23rocsparse_storage_mode_P22rocsparse_data_status_,@function
_ZN9rocsparseL23check_matrix_coo_deviceILj256EdllEEvT2_S1_lPKT0_PKT1_PKS1_21rocsparse_index_base_22rocsparse_matrix_type_20rocsparse_fill_mode_23rocsparse_storage_mode_P22rocsparse_data_status_: ; @_ZN9rocsparseL23check_matrix_coo_deviceILj256EdllEEvT2_S1_lPKT0_PKT1_PKS1_21rocsparse_index_base_22rocsparse_matrix_type_20rocsparse_fill_mode_23rocsparse_storage_mode_P22rocsparse_data_status_
; %bb.0:
	s_load_dwordx2 s[12:13], s[4:5], 0x10
	v_lshl_or_b32 v0, s6, 8, v0
	v_mov_b32_e32 v1, 0
	s_mov_b32 s0, exec_lo
	s_waitcnt lgkmcnt(0)
	v_cmpx_gt_i64_e64 s[12:13], v[0:1]
	s_cbranch_execz .LBB5_24
; %bb.1:
	s_load_dwordx2 s[0:1], s[4:5], 0x20
	v_lshlrev_b64 v[10:11], 3, v[0:1]
	v_mov_b32_e32 v12, 4
	s_waitcnt lgkmcnt(0)
	v_add_co_u32 v2, vcc_lo, s0, v10
	v_add_co_ci_u32_e64 v3, null, s1, v11, vcc_lo
	global_load_dwordx2 v[4:5], v[2:3], off
	s_clause 0x1
	s_load_dwordx4 s[8:11], s[4:5], 0x30
	s_load_dwordx4 s[0:3], s[4:5], 0x0
	s_waitcnt vmcnt(0) lgkmcnt(0)
	v_sub_co_u32 v6, vcc_lo, v4, s8
	v_subrev_co_ci_u32_e64 v7, null, 0, v5, vcc_lo
	v_cmp_lt_i64_e32 vcc_lo, -1, v[6:7]
	v_cmp_gt_i64_e64 s0, s[0:1], v[6:7]
	s_and_b32 s0, vcc_lo, s0
	s_xor_b32 s6, s0, -1
	s_and_saveexec_b32 s7, s0
	s_cbranch_execz .LBB5_22
; %bb.2:
	s_load_dwordx2 s[0:1], s[4:5], 0x28
	s_waitcnt lgkmcnt(0)
	v_add_co_u32 v8, vcc_lo, s0, v10
	v_add_co_ci_u32_e64 v9, null, s1, v11, vcc_lo
	global_load_dwordx2 v[6:7], v[8:9], off
	s_waitcnt vmcnt(0)
	v_sub_co_u32 v12, vcc_lo, v6, s8
	v_subrev_co_ci_u32_e64 v13, null, 0, v7, vcc_lo
	v_cmp_lt_i64_e32 vcc_lo, -1, v[12:13]
	v_cmp_gt_i64_e64 s0, s[2:3], v[12:13]
	v_mov_b32_e32 v12, 4
	s_and_b32 s0, vcc_lo, s0
	s_xor_b32 s14, s0, -1
	s_and_saveexec_b32 s15, s0
	s_cbranch_execz .LBB5_21
; %bb.3:
	s_load_dwordx2 s[0:1], s[4:5], 0x18
	v_mov_b32_e32 v12, 1
	s_mov_b32 s16, exec_lo
	s_waitcnt lgkmcnt(0)
	v_add_co_u32 v10, vcc_lo, s0, v10
	v_add_co_ci_u32_e64 v11, null, s1, v11, vcc_lo
	global_load_dwordx2 v[10:11], v[10:11], off
	s_waitcnt vmcnt(0)
	v_cmp_eq_f64_e64 s0, 0x7ff00000, v[10:11]
	v_cmpx_neq_f64_e32 0x7ff00000, v[10:11]
	s_cbranch_execz .LBB5_20
; %bb.4:
	v_mov_b32_e32 v12, 2
	s_mov_b32 s1, -1
	s_mov_b32 s17, exec_lo
	v_cmpx_o_f64_e32 v[10:11], v[10:11]
	s_cbranch_execz .LBB5_19
; %bb.5:
	s_cmp_lg_u32 s9, 0
	s_mov_b32 s19, 0
	s_cbranch_scc0 .LBB5_8
; %bb.6:
	s_cmp_lg_u32 s10, 0
	s_mov_b32 s1, 0
	s_cbranch_scc0 .LBB5_9
; %bb.7:
	v_cmp_le_i64_e32 vcc_lo, v[4:5], v[6:7]
	s_mov_b32 s9, -1
	s_mov_b32 s10, 7
	s_and_b32 s19, vcc_lo, exec_lo
	s_branch .LBB5_10
.LBB5_8:
	s_mov_b32 s19, -1
	s_mov_b32 s9, 0
	s_mov_b32 s10, 2
	s_branch .LBB5_12
.LBB5_9:
	s_mov_b32 s1, -1
	s_mov_b32 s10, 2
	s_mov_b32 s9, 0
.LBB5_10:
	s_andn2_b32 vcc_lo, exec_lo, s1
	s_cbranch_vccnz .LBB5_12
; %bb.11:
	v_cmp_lt_i64_e32 vcc_lo, v[4:5], v[6:7]
	v_cmp_ge_i64_e64 s1, v[4:5], v[6:7]
	s_andn2_b32 s9, s9, exec_lo
	s_andn2_b32 s18, s19, exec_lo
	s_mov_b32 s10, 7
	s_and_b32 s19, vcc_lo, exec_lo
	s_and_b32 s1, s1, exec_lo
	s_or_b32 s9, s9, s19
	s_or_b32 s19, s18, s1
.LBB5_12:
	v_mov_b32_e32 v12, s10
	s_and_saveexec_b32 s18, s19
	s_cbranch_execz .LBB5_18
; %bb.13:
	s_cmp_eq_u32 s11, 0
	v_mov_b32_e32 v12, s10
	s_cselect_b32 s11, -1, 0
	s_add_u32 s12, s12, -1
	s_addc_u32 s13, s13, -1
	s_mov_b32 s1, 0
	v_cmp_gt_u64_e32 vcc_lo, s[12:13], v[0:1]
	s_and_b32 s12, s11, vcc_lo
	s_and_saveexec_b32 s11, s12
	s_cbranch_execz .LBB5_17
; %bb.14:
	global_load_dwordx2 v[0:1], v[2:3], off offset:8
	v_mov_b32_e32 v12, s10
	s_mov_b32 s10, exec_lo
	s_waitcnt vmcnt(0)
	v_cmpx_eq_u64_e64 v[4:5], v[0:1]
	s_cbranch_execz .LBB5_16
; %bb.15:
	global_load_dwordx2 v[0:1], v[8:9], off offset:8
	v_mov_b32_e32 v12, 6
	s_waitcnt vmcnt(0)
	v_sub_co_u32 v2, vcc_lo, v0, s8
	v_subrev_co_ci_u32_e64 v3, null, 0, v1, vcc_lo
	v_cmp_lt_i64_e32 vcc_lo, -1, v[2:3]
	v_cmp_gt_i64_e64 s1, s[2:3], v[2:3]
	v_cmp_gt_i64_e64 s2, v[6:7], v[0:1]
	s_and_b32 s1, vcc_lo, s1
	s_and_b32 s1, s2, s1
	s_and_b32 s1, s1, exec_lo
.LBB5_16:
	s_or_b32 exec_lo, exec_lo, s10
	s_and_b32 s1, s1, exec_lo
.LBB5_17:
	s_or_b32 exec_lo, exec_lo, s11
	s_andn2_b32 s2, s9, exec_lo
	s_and_b32 s1, s1, exec_lo
	s_or_b32 s9, s2, s1
.LBB5_18:
	s_or_b32 exec_lo, exec_lo, s18
	s_orn2_b32 s1, s9, exec_lo
.LBB5_19:
	s_or_b32 exec_lo, exec_lo, s17
	s_andn2_b32 s0, s0, exec_lo
	s_and_b32 s1, s1, exec_lo
	s_or_b32 s0, s0, s1
.LBB5_20:
	s_or_b32 exec_lo, exec_lo, s16
	s_andn2_b32 s1, s14, exec_lo
	s_and_b32 s0, s0, exec_lo
	s_or_b32 s14, s1, s0
.LBB5_21:
	s_or_b32 exec_lo, exec_lo, s15
	s_andn2_b32 s0, s6, exec_lo
	s_and_b32 s1, s14, exec_lo
	s_or_b32 s6, s0, s1
.LBB5_22:
	s_or_b32 exec_lo, exec_lo, s7
	s_and_b32 exec_lo, exec_lo, s6
	s_cbranch_execz .LBB5_24
; %bb.23:
	s_load_dwordx2 s[0:1], s[4:5], 0x40
	v_mov_b32_e32 v0, 0
	s_waitcnt lgkmcnt(0)
	global_store_dword v0, v12, s[0:1]
.LBB5_24:
	s_endpgm
	.section	.rodata,"a",@progbits
	.p2align	6, 0x0
	.amdhsa_kernel _ZN9rocsparseL23check_matrix_coo_deviceILj256EdllEEvT2_S1_lPKT0_PKT1_PKS1_21rocsparse_index_base_22rocsparse_matrix_type_20rocsparse_fill_mode_23rocsparse_storage_mode_P22rocsparse_data_status_
		.amdhsa_group_segment_fixed_size 0
		.amdhsa_private_segment_fixed_size 0
		.amdhsa_kernarg_size 72
		.amdhsa_user_sgpr_count 6
		.amdhsa_user_sgpr_private_segment_buffer 1
		.amdhsa_user_sgpr_dispatch_ptr 0
		.amdhsa_user_sgpr_queue_ptr 0
		.amdhsa_user_sgpr_kernarg_segment_ptr 1
		.amdhsa_user_sgpr_dispatch_id 0
		.amdhsa_user_sgpr_flat_scratch_init 0
		.amdhsa_user_sgpr_private_segment_size 0
		.amdhsa_wavefront_size32 1
		.amdhsa_uses_dynamic_stack 0
		.amdhsa_system_sgpr_private_segment_wavefront_offset 0
		.amdhsa_system_sgpr_workgroup_id_x 1
		.amdhsa_system_sgpr_workgroup_id_y 0
		.amdhsa_system_sgpr_workgroup_id_z 0
		.amdhsa_system_sgpr_workgroup_info 0
		.amdhsa_system_vgpr_workitem_id 0
		.amdhsa_next_free_vgpr 14
		.amdhsa_next_free_sgpr 20
		.amdhsa_reserve_vcc 1
		.amdhsa_reserve_flat_scratch 0
		.amdhsa_float_round_mode_32 0
		.amdhsa_float_round_mode_16_64 0
		.amdhsa_float_denorm_mode_32 3
		.amdhsa_float_denorm_mode_16_64 3
		.amdhsa_dx10_clamp 1
		.amdhsa_ieee_mode 1
		.amdhsa_fp16_overflow 0
		.amdhsa_workgroup_processor_mode 1
		.amdhsa_memory_ordered 1
		.amdhsa_forward_progress 1
		.amdhsa_shared_vgpr_count 0
		.amdhsa_exception_fp_ieee_invalid_op 0
		.amdhsa_exception_fp_denorm_src 0
		.amdhsa_exception_fp_ieee_div_zero 0
		.amdhsa_exception_fp_ieee_overflow 0
		.amdhsa_exception_fp_ieee_underflow 0
		.amdhsa_exception_fp_ieee_inexact 0
		.amdhsa_exception_int_div_zero 0
	.end_amdhsa_kernel
	.section	.text._ZN9rocsparseL23check_matrix_coo_deviceILj256EdllEEvT2_S1_lPKT0_PKT1_PKS1_21rocsparse_index_base_22rocsparse_matrix_type_20rocsparse_fill_mode_23rocsparse_storage_mode_P22rocsparse_data_status_,"axG",@progbits,_ZN9rocsparseL23check_matrix_coo_deviceILj256EdllEEvT2_S1_lPKT0_PKT1_PKS1_21rocsparse_index_base_22rocsparse_matrix_type_20rocsparse_fill_mode_23rocsparse_storage_mode_P22rocsparse_data_status_,comdat
.Lfunc_end5:
	.size	_ZN9rocsparseL23check_matrix_coo_deviceILj256EdllEEvT2_S1_lPKT0_PKT1_PKS1_21rocsparse_index_base_22rocsparse_matrix_type_20rocsparse_fill_mode_23rocsparse_storage_mode_P22rocsparse_data_status_, .Lfunc_end5-_ZN9rocsparseL23check_matrix_coo_deviceILj256EdllEEvT2_S1_lPKT0_PKT1_PKS1_21rocsparse_index_base_22rocsparse_matrix_type_20rocsparse_fill_mode_23rocsparse_storage_mode_P22rocsparse_data_status_
                                        ; -- End function
	.set _ZN9rocsparseL23check_matrix_coo_deviceILj256EdllEEvT2_S1_lPKT0_PKT1_PKS1_21rocsparse_index_base_22rocsparse_matrix_type_20rocsparse_fill_mode_23rocsparse_storage_mode_P22rocsparse_data_status_.num_vgpr, 14
	.set _ZN9rocsparseL23check_matrix_coo_deviceILj256EdllEEvT2_S1_lPKT0_PKT1_PKS1_21rocsparse_index_base_22rocsparse_matrix_type_20rocsparse_fill_mode_23rocsparse_storage_mode_P22rocsparse_data_status_.num_agpr, 0
	.set _ZN9rocsparseL23check_matrix_coo_deviceILj256EdllEEvT2_S1_lPKT0_PKT1_PKS1_21rocsparse_index_base_22rocsparse_matrix_type_20rocsparse_fill_mode_23rocsparse_storage_mode_P22rocsparse_data_status_.numbered_sgpr, 20
	.set _ZN9rocsparseL23check_matrix_coo_deviceILj256EdllEEvT2_S1_lPKT0_PKT1_PKS1_21rocsparse_index_base_22rocsparse_matrix_type_20rocsparse_fill_mode_23rocsparse_storage_mode_P22rocsparse_data_status_.num_named_barrier, 0
	.set _ZN9rocsparseL23check_matrix_coo_deviceILj256EdllEEvT2_S1_lPKT0_PKT1_PKS1_21rocsparse_index_base_22rocsparse_matrix_type_20rocsparse_fill_mode_23rocsparse_storage_mode_P22rocsparse_data_status_.private_seg_size, 0
	.set _ZN9rocsparseL23check_matrix_coo_deviceILj256EdllEEvT2_S1_lPKT0_PKT1_PKS1_21rocsparse_index_base_22rocsparse_matrix_type_20rocsparse_fill_mode_23rocsparse_storage_mode_P22rocsparse_data_status_.uses_vcc, 1
	.set _ZN9rocsparseL23check_matrix_coo_deviceILj256EdllEEvT2_S1_lPKT0_PKT1_PKS1_21rocsparse_index_base_22rocsparse_matrix_type_20rocsparse_fill_mode_23rocsparse_storage_mode_P22rocsparse_data_status_.uses_flat_scratch, 0
	.set _ZN9rocsparseL23check_matrix_coo_deviceILj256EdllEEvT2_S1_lPKT0_PKT1_PKS1_21rocsparse_index_base_22rocsparse_matrix_type_20rocsparse_fill_mode_23rocsparse_storage_mode_P22rocsparse_data_status_.has_dyn_sized_stack, 0
	.set _ZN9rocsparseL23check_matrix_coo_deviceILj256EdllEEvT2_S1_lPKT0_PKT1_PKS1_21rocsparse_index_base_22rocsparse_matrix_type_20rocsparse_fill_mode_23rocsparse_storage_mode_P22rocsparse_data_status_.has_recursion, 0
	.set _ZN9rocsparseL23check_matrix_coo_deviceILj256EdllEEvT2_S1_lPKT0_PKT1_PKS1_21rocsparse_index_base_22rocsparse_matrix_type_20rocsparse_fill_mode_23rocsparse_storage_mode_P22rocsparse_data_status_.has_indirect_call, 0
	.section	.AMDGPU.csdata,"",@progbits
; Kernel info:
; codeLenInByte = 724
; TotalNumSgprs: 22
; NumVgprs: 14
; ScratchSize: 0
; MemoryBound: 0
; FloatMode: 240
; IeeeMode: 1
; LDSByteSize: 0 bytes/workgroup (compile time only)
; SGPRBlocks: 0
; VGPRBlocks: 1
; NumSGPRsForWavesPerEU: 22
; NumVGPRsForWavesPerEU: 14
; Occupancy: 16
; WaveLimiterHint : 0
; COMPUTE_PGM_RSRC2:SCRATCH_EN: 0
; COMPUTE_PGM_RSRC2:USER_SGPR: 6
; COMPUTE_PGM_RSRC2:TRAP_HANDLER: 0
; COMPUTE_PGM_RSRC2:TGID_X_EN: 1
; COMPUTE_PGM_RSRC2:TGID_Y_EN: 0
; COMPUTE_PGM_RSRC2:TGID_Z_EN: 0
; COMPUTE_PGM_RSRC2:TIDIG_COMP_CNT: 0
	.section	.text._ZN9rocsparseL23check_matrix_coo_deviceILj256E21rocsparse_complex_numIfEllEEvT2_S3_lPKT0_PKT1_PKS3_21rocsparse_index_base_22rocsparse_matrix_type_20rocsparse_fill_mode_23rocsparse_storage_mode_P22rocsparse_data_status_,"axG",@progbits,_ZN9rocsparseL23check_matrix_coo_deviceILj256E21rocsparse_complex_numIfEllEEvT2_S3_lPKT0_PKT1_PKS3_21rocsparse_index_base_22rocsparse_matrix_type_20rocsparse_fill_mode_23rocsparse_storage_mode_P22rocsparse_data_status_,comdat
	.globl	_ZN9rocsparseL23check_matrix_coo_deviceILj256E21rocsparse_complex_numIfEllEEvT2_S3_lPKT0_PKT1_PKS3_21rocsparse_index_base_22rocsparse_matrix_type_20rocsparse_fill_mode_23rocsparse_storage_mode_P22rocsparse_data_status_ ; -- Begin function _ZN9rocsparseL23check_matrix_coo_deviceILj256E21rocsparse_complex_numIfEllEEvT2_S3_lPKT0_PKT1_PKS3_21rocsparse_index_base_22rocsparse_matrix_type_20rocsparse_fill_mode_23rocsparse_storage_mode_P22rocsparse_data_status_
	.p2align	8
	.type	_ZN9rocsparseL23check_matrix_coo_deviceILj256E21rocsparse_complex_numIfEllEEvT2_S3_lPKT0_PKT1_PKS3_21rocsparse_index_base_22rocsparse_matrix_type_20rocsparse_fill_mode_23rocsparse_storage_mode_P22rocsparse_data_status_,@function
_ZN9rocsparseL23check_matrix_coo_deviceILj256E21rocsparse_complex_numIfEllEEvT2_S3_lPKT0_PKT1_PKS3_21rocsparse_index_base_22rocsparse_matrix_type_20rocsparse_fill_mode_23rocsparse_storage_mode_P22rocsparse_data_status_: ; @_ZN9rocsparseL23check_matrix_coo_deviceILj256E21rocsparse_complex_numIfEllEEvT2_S3_lPKT0_PKT1_PKS3_21rocsparse_index_base_22rocsparse_matrix_type_20rocsparse_fill_mode_23rocsparse_storage_mode_P22rocsparse_data_status_
; %bb.0:
	s_load_dwordx2 s[12:13], s[4:5], 0x10
	v_lshl_or_b32 v0, s6, 8, v0
	v_mov_b32_e32 v1, 0
	s_mov_b32 s0, exec_lo
	s_waitcnt lgkmcnt(0)
	v_cmpx_gt_i64_e64 s[12:13], v[0:1]
	s_cbranch_execz .LBB6_24
; %bb.1:
	s_load_dwordx2 s[0:1], s[4:5], 0x20
	v_lshlrev_b64 v[10:11], 3, v[0:1]
	v_mov_b32_e32 v12, 4
	s_waitcnt lgkmcnt(0)
	v_add_co_u32 v2, vcc_lo, s0, v10
	v_add_co_ci_u32_e64 v3, null, s1, v11, vcc_lo
	global_load_dwordx2 v[4:5], v[2:3], off
	s_clause 0x1
	s_load_dwordx4 s[8:11], s[4:5], 0x30
	s_load_dwordx4 s[0:3], s[4:5], 0x0
	s_waitcnt vmcnt(0) lgkmcnt(0)
	v_sub_co_u32 v6, vcc_lo, v4, s8
	v_subrev_co_ci_u32_e64 v7, null, 0, v5, vcc_lo
	v_cmp_lt_i64_e32 vcc_lo, -1, v[6:7]
	v_cmp_gt_i64_e64 s0, s[0:1], v[6:7]
	s_and_b32 s0, vcc_lo, s0
	s_xor_b32 s6, s0, -1
	s_and_saveexec_b32 s7, s0
	s_cbranch_execz .LBB6_22
; %bb.2:
	s_load_dwordx2 s[0:1], s[4:5], 0x28
	s_waitcnt lgkmcnt(0)
	v_add_co_u32 v8, vcc_lo, s0, v10
	v_add_co_ci_u32_e64 v9, null, s1, v11, vcc_lo
	global_load_dwordx2 v[6:7], v[8:9], off
	s_waitcnt vmcnt(0)
	v_sub_co_u32 v12, vcc_lo, v6, s8
	v_subrev_co_ci_u32_e64 v13, null, 0, v7, vcc_lo
	v_cmp_lt_i64_e32 vcc_lo, -1, v[12:13]
	v_cmp_gt_i64_e64 s0, s[2:3], v[12:13]
	v_mov_b32_e32 v12, 4
	s_and_b32 s0, vcc_lo, s0
	s_xor_b32 s14, s0, -1
	s_and_saveexec_b32 s15, s0
	s_cbranch_execz .LBB6_21
; %bb.3:
	s_load_dwordx2 s[0:1], s[4:5], 0x18
	v_mov_b32_e32 v12, 1
	s_waitcnt lgkmcnt(0)
	v_add_co_u32 v10, vcc_lo, s0, v10
	v_add_co_ci_u32_e64 v11, null, s1, v11, vcc_lo
	global_load_dwordx2 v[10:11], v[10:11], off
	s_waitcnt vmcnt(0)
	v_cmp_eq_f32_e32 vcc_lo, 0x7f800000, v10
	v_cmp_eq_f32_e64 s0, 0x7f800000, v11
	s_or_b32 s16, vcc_lo, s0
	s_mov_b32 s0, -1
	s_xor_b32 s1, s16, -1
	s_and_saveexec_b32 s17, s1
	s_cbranch_execz .LBB6_20
; %bb.4:
	v_mov_b32_e32 v12, 2
	s_mov_b32 s18, exec_lo
	v_cmpx_o_f32_e32 v10, v11
	s_cbranch_execz .LBB6_19
; %bb.5:
	s_cmp_lg_u32 s9, 0
	s_mov_b32 s19, 0
	s_cbranch_scc0 .LBB6_8
; %bb.6:
	s_cmp_lg_u32 s10, 0
	s_mov_b32 s0, 0
	s_cbranch_scc0 .LBB6_9
; %bb.7:
	v_cmp_le_i64_e32 vcc_lo, v[4:5], v[6:7]
	s_mov_b32 s9, -1
	s_mov_b32 s1, 7
	s_and_b32 s19, vcc_lo, exec_lo
	s_branch .LBB6_10
.LBB6_8:
	s_mov_b32 s19, -1
	s_mov_b32 s9, 0
	s_mov_b32 s1, 2
	s_branch .LBB6_12
.LBB6_9:
	s_mov_b32 s0, -1
	s_mov_b32 s1, 2
	s_mov_b32 s9, 0
.LBB6_10:
	s_andn2_b32 vcc_lo, exec_lo, s0
	s_cbranch_vccnz .LBB6_12
; %bb.11:
	v_cmp_lt_i64_e32 vcc_lo, v[4:5], v[6:7]
	v_cmp_ge_i64_e64 s0, v[4:5], v[6:7]
	s_andn2_b32 s9, s9, exec_lo
	s_andn2_b32 s10, s19, exec_lo
	s_mov_b32 s1, 7
	s_and_b32 s19, vcc_lo, exec_lo
	s_and_b32 s0, s0, exec_lo
	s_or_b32 s9, s9, s19
	s_or_b32 s19, s10, s0
.LBB6_12:
	v_mov_b32_e32 v12, s1
	s_and_saveexec_b32 s10, s19
	s_cbranch_execz .LBB6_18
; %bb.13:
	s_cmp_eq_u32 s11, 0
	v_mov_b32_e32 v12, s1
	s_cselect_b32 s11, -1, 0
	s_add_u32 s12, s12, -1
	s_addc_u32 s13, s13, -1
	s_mov_b32 s0, 0
	v_cmp_gt_u64_e32 vcc_lo, s[12:13], v[0:1]
	s_and_b32 s12, s11, vcc_lo
	s_and_saveexec_b32 s11, s12
	s_cbranch_execz .LBB6_17
; %bb.14:
	global_load_dwordx2 v[0:1], v[2:3], off offset:8
	v_mov_b32_e32 v12, s1
	s_mov_b32 s12, exec_lo
	s_waitcnt vmcnt(0)
	v_cmpx_eq_u64_e64 v[4:5], v[0:1]
	s_cbranch_execz .LBB6_16
; %bb.15:
	global_load_dwordx2 v[0:1], v[8:9], off offset:8
	v_mov_b32_e32 v12, 6
	s_waitcnt vmcnt(0)
	v_sub_co_u32 v2, vcc_lo, v0, s8
	v_subrev_co_ci_u32_e64 v3, null, 0, v1, vcc_lo
	v_cmp_gt_i64_e64 s1, v[6:7], v[0:1]
	v_cmp_lt_i64_e32 vcc_lo, -1, v[2:3]
	v_cmp_gt_i64_e64 s0, s[2:3], v[2:3]
	s_and_b32 s0, vcc_lo, s0
	s_and_b32 s0, s1, s0
	s_and_b32 s0, s0, exec_lo
.LBB6_16:
	s_or_b32 exec_lo, exec_lo, s12
	s_and_b32 s0, s0, exec_lo
.LBB6_17:
	s_or_b32 exec_lo, exec_lo, s11
	s_andn2_b32 s1, s9, exec_lo
	s_and_b32 s0, s0, exec_lo
	s_or_b32 s9, s1, s0
.LBB6_18:
	s_or_b32 exec_lo, exec_lo, s10
	s_orn2_b32 s0, s9, exec_lo
.LBB6_19:
	s_or_b32 exec_lo, exec_lo, s18
	s_andn2_b32 s1, s16, exec_lo
	s_and_b32 s0, s0, exec_lo
	s_or_b32 s16, s1, s0
.LBB6_20:
	s_or_b32 exec_lo, exec_lo, s17
	s_andn2_b32 s0, s14, exec_lo
	s_and_b32 s1, s16, exec_lo
	s_or_b32 s14, s0, s1
.LBB6_21:
	s_or_b32 exec_lo, exec_lo, s15
	s_andn2_b32 s0, s6, exec_lo
	s_and_b32 s1, s14, exec_lo
	s_or_b32 s6, s0, s1
.LBB6_22:
	s_or_b32 exec_lo, exec_lo, s7
	s_and_b32 exec_lo, exec_lo, s6
	s_cbranch_execz .LBB6_24
; %bb.23:
	s_load_dwordx2 s[0:1], s[4:5], 0x40
	v_mov_b32_e32 v0, 0
	s_waitcnt lgkmcnt(0)
	global_store_dword v0, v12, s[0:1]
.LBB6_24:
	s_endpgm
	.section	.rodata,"a",@progbits
	.p2align	6, 0x0
	.amdhsa_kernel _ZN9rocsparseL23check_matrix_coo_deviceILj256E21rocsparse_complex_numIfEllEEvT2_S3_lPKT0_PKT1_PKS3_21rocsparse_index_base_22rocsparse_matrix_type_20rocsparse_fill_mode_23rocsparse_storage_mode_P22rocsparse_data_status_
		.amdhsa_group_segment_fixed_size 0
		.amdhsa_private_segment_fixed_size 0
		.amdhsa_kernarg_size 72
		.amdhsa_user_sgpr_count 6
		.amdhsa_user_sgpr_private_segment_buffer 1
		.amdhsa_user_sgpr_dispatch_ptr 0
		.amdhsa_user_sgpr_queue_ptr 0
		.amdhsa_user_sgpr_kernarg_segment_ptr 1
		.amdhsa_user_sgpr_dispatch_id 0
		.amdhsa_user_sgpr_flat_scratch_init 0
		.amdhsa_user_sgpr_private_segment_size 0
		.amdhsa_wavefront_size32 1
		.amdhsa_uses_dynamic_stack 0
		.amdhsa_system_sgpr_private_segment_wavefront_offset 0
		.amdhsa_system_sgpr_workgroup_id_x 1
		.amdhsa_system_sgpr_workgroup_id_y 0
		.amdhsa_system_sgpr_workgroup_id_z 0
		.amdhsa_system_sgpr_workgroup_info 0
		.amdhsa_system_vgpr_workitem_id 0
		.amdhsa_next_free_vgpr 14
		.amdhsa_next_free_sgpr 20
		.amdhsa_reserve_vcc 1
		.amdhsa_reserve_flat_scratch 0
		.amdhsa_float_round_mode_32 0
		.amdhsa_float_round_mode_16_64 0
		.amdhsa_float_denorm_mode_32 3
		.amdhsa_float_denorm_mode_16_64 3
		.amdhsa_dx10_clamp 1
		.amdhsa_ieee_mode 1
		.amdhsa_fp16_overflow 0
		.amdhsa_workgroup_processor_mode 1
		.amdhsa_memory_ordered 1
		.amdhsa_forward_progress 1
		.amdhsa_shared_vgpr_count 0
		.amdhsa_exception_fp_ieee_invalid_op 0
		.amdhsa_exception_fp_denorm_src 0
		.amdhsa_exception_fp_ieee_div_zero 0
		.amdhsa_exception_fp_ieee_overflow 0
		.amdhsa_exception_fp_ieee_underflow 0
		.amdhsa_exception_fp_ieee_inexact 0
		.amdhsa_exception_int_div_zero 0
	.end_amdhsa_kernel
	.section	.text._ZN9rocsparseL23check_matrix_coo_deviceILj256E21rocsparse_complex_numIfEllEEvT2_S3_lPKT0_PKT1_PKS3_21rocsparse_index_base_22rocsparse_matrix_type_20rocsparse_fill_mode_23rocsparse_storage_mode_P22rocsparse_data_status_,"axG",@progbits,_ZN9rocsparseL23check_matrix_coo_deviceILj256E21rocsparse_complex_numIfEllEEvT2_S3_lPKT0_PKT1_PKS3_21rocsparse_index_base_22rocsparse_matrix_type_20rocsparse_fill_mode_23rocsparse_storage_mode_P22rocsparse_data_status_,comdat
.Lfunc_end6:
	.size	_ZN9rocsparseL23check_matrix_coo_deviceILj256E21rocsparse_complex_numIfEllEEvT2_S3_lPKT0_PKT1_PKS3_21rocsparse_index_base_22rocsparse_matrix_type_20rocsparse_fill_mode_23rocsparse_storage_mode_P22rocsparse_data_status_, .Lfunc_end6-_ZN9rocsparseL23check_matrix_coo_deviceILj256E21rocsparse_complex_numIfEllEEvT2_S3_lPKT0_PKT1_PKS3_21rocsparse_index_base_22rocsparse_matrix_type_20rocsparse_fill_mode_23rocsparse_storage_mode_P22rocsparse_data_status_
                                        ; -- End function
	.set _ZN9rocsparseL23check_matrix_coo_deviceILj256E21rocsparse_complex_numIfEllEEvT2_S3_lPKT0_PKT1_PKS3_21rocsparse_index_base_22rocsparse_matrix_type_20rocsparse_fill_mode_23rocsparse_storage_mode_P22rocsparse_data_status_.num_vgpr, 14
	.set _ZN9rocsparseL23check_matrix_coo_deviceILj256E21rocsparse_complex_numIfEllEEvT2_S3_lPKT0_PKT1_PKS3_21rocsparse_index_base_22rocsparse_matrix_type_20rocsparse_fill_mode_23rocsparse_storage_mode_P22rocsparse_data_status_.num_agpr, 0
	.set _ZN9rocsparseL23check_matrix_coo_deviceILj256E21rocsparse_complex_numIfEllEEvT2_S3_lPKT0_PKT1_PKS3_21rocsparse_index_base_22rocsparse_matrix_type_20rocsparse_fill_mode_23rocsparse_storage_mode_P22rocsparse_data_status_.numbered_sgpr, 20
	.set _ZN9rocsparseL23check_matrix_coo_deviceILj256E21rocsparse_complex_numIfEllEEvT2_S3_lPKT0_PKT1_PKS3_21rocsparse_index_base_22rocsparse_matrix_type_20rocsparse_fill_mode_23rocsparse_storage_mode_P22rocsparse_data_status_.num_named_barrier, 0
	.set _ZN9rocsparseL23check_matrix_coo_deviceILj256E21rocsparse_complex_numIfEllEEvT2_S3_lPKT0_PKT1_PKS3_21rocsparse_index_base_22rocsparse_matrix_type_20rocsparse_fill_mode_23rocsparse_storage_mode_P22rocsparse_data_status_.private_seg_size, 0
	.set _ZN9rocsparseL23check_matrix_coo_deviceILj256E21rocsparse_complex_numIfEllEEvT2_S3_lPKT0_PKT1_PKS3_21rocsparse_index_base_22rocsparse_matrix_type_20rocsparse_fill_mode_23rocsparse_storage_mode_P22rocsparse_data_status_.uses_vcc, 1
	.set _ZN9rocsparseL23check_matrix_coo_deviceILj256E21rocsparse_complex_numIfEllEEvT2_S3_lPKT0_PKT1_PKS3_21rocsparse_index_base_22rocsparse_matrix_type_20rocsparse_fill_mode_23rocsparse_storage_mode_P22rocsparse_data_status_.uses_flat_scratch, 0
	.set _ZN9rocsparseL23check_matrix_coo_deviceILj256E21rocsparse_complex_numIfEllEEvT2_S3_lPKT0_PKT1_PKS3_21rocsparse_index_base_22rocsparse_matrix_type_20rocsparse_fill_mode_23rocsparse_storage_mode_P22rocsparse_data_status_.has_dyn_sized_stack, 0
	.set _ZN9rocsparseL23check_matrix_coo_deviceILj256E21rocsparse_complex_numIfEllEEvT2_S3_lPKT0_PKT1_PKS3_21rocsparse_index_base_22rocsparse_matrix_type_20rocsparse_fill_mode_23rocsparse_storage_mode_P22rocsparse_data_status_.has_recursion, 0
	.set _ZN9rocsparseL23check_matrix_coo_deviceILj256E21rocsparse_complex_numIfEllEEvT2_S3_lPKT0_PKT1_PKS3_21rocsparse_index_base_22rocsparse_matrix_type_20rocsparse_fill_mode_23rocsparse_storage_mode_P22rocsparse_data_status_.has_indirect_call, 0
	.section	.AMDGPU.csdata,"",@progbits
; Kernel info:
; codeLenInByte = 732
; TotalNumSgprs: 22
; NumVgprs: 14
; ScratchSize: 0
; MemoryBound: 0
; FloatMode: 240
; IeeeMode: 1
; LDSByteSize: 0 bytes/workgroup (compile time only)
; SGPRBlocks: 0
; VGPRBlocks: 1
; NumSGPRsForWavesPerEU: 22
; NumVGPRsForWavesPerEU: 14
; Occupancy: 16
; WaveLimiterHint : 0
; COMPUTE_PGM_RSRC2:SCRATCH_EN: 0
; COMPUTE_PGM_RSRC2:USER_SGPR: 6
; COMPUTE_PGM_RSRC2:TRAP_HANDLER: 0
; COMPUTE_PGM_RSRC2:TGID_X_EN: 1
; COMPUTE_PGM_RSRC2:TGID_Y_EN: 0
; COMPUTE_PGM_RSRC2:TGID_Z_EN: 0
; COMPUTE_PGM_RSRC2:TIDIG_COMP_CNT: 0
	.section	.text._ZN9rocsparseL23check_matrix_coo_deviceILj256E21rocsparse_complex_numIdEllEEvT2_S3_lPKT0_PKT1_PKS3_21rocsparse_index_base_22rocsparse_matrix_type_20rocsparse_fill_mode_23rocsparse_storage_mode_P22rocsparse_data_status_,"axG",@progbits,_ZN9rocsparseL23check_matrix_coo_deviceILj256E21rocsparse_complex_numIdEllEEvT2_S3_lPKT0_PKT1_PKS3_21rocsparse_index_base_22rocsparse_matrix_type_20rocsparse_fill_mode_23rocsparse_storage_mode_P22rocsparse_data_status_,comdat
	.globl	_ZN9rocsparseL23check_matrix_coo_deviceILj256E21rocsparse_complex_numIdEllEEvT2_S3_lPKT0_PKT1_PKS3_21rocsparse_index_base_22rocsparse_matrix_type_20rocsparse_fill_mode_23rocsparse_storage_mode_P22rocsparse_data_status_ ; -- Begin function _ZN9rocsparseL23check_matrix_coo_deviceILj256E21rocsparse_complex_numIdEllEEvT2_S3_lPKT0_PKT1_PKS3_21rocsparse_index_base_22rocsparse_matrix_type_20rocsparse_fill_mode_23rocsparse_storage_mode_P22rocsparse_data_status_
	.p2align	8
	.type	_ZN9rocsparseL23check_matrix_coo_deviceILj256E21rocsparse_complex_numIdEllEEvT2_S3_lPKT0_PKT1_PKS3_21rocsparse_index_base_22rocsparse_matrix_type_20rocsparse_fill_mode_23rocsparse_storage_mode_P22rocsparse_data_status_,@function
_ZN9rocsparseL23check_matrix_coo_deviceILj256E21rocsparse_complex_numIdEllEEvT2_S3_lPKT0_PKT1_PKS3_21rocsparse_index_base_22rocsparse_matrix_type_20rocsparse_fill_mode_23rocsparse_storage_mode_P22rocsparse_data_status_: ; @_ZN9rocsparseL23check_matrix_coo_deviceILj256E21rocsparse_complex_numIdEllEEvT2_S3_lPKT0_PKT1_PKS3_21rocsparse_index_base_22rocsparse_matrix_type_20rocsparse_fill_mode_23rocsparse_storage_mode_P22rocsparse_data_status_
; %bb.0:
	s_load_dwordx2 s[12:13], s[4:5], 0x10
	v_lshl_or_b32 v4, s6, 8, v0
	v_mov_b32_e32 v5, 0
	s_mov_b32 s0, exec_lo
	s_waitcnt lgkmcnt(0)
	v_cmpx_gt_i64_e64 s[12:13], v[4:5]
	s_cbranch_execz .LBB7_24
; %bb.1:
	s_load_dwordx2 s[0:1], s[4:5], 0x20
	v_lshlrev_b64 v[0:1], 3, v[4:5]
	v_mov_b32_e32 v14, 4
	s_waitcnt lgkmcnt(0)
	v_add_co_u32 v6, vcc_lo, s0, v0
	v_add_co_ci_u32_e64 v7, null, s1, v1, vcc_lo
	global_load_dwordx2 v[8:9], v[6:7], off
	s_clause 0x1
	s_load_dwordx4 s[8:11], s[4:5], 0x30
	s_load_dwordx4 s[0:3], s[4:5], 0x0
	s_waitcnt vmcnt(0) lgkmcnt(0)
	v_sub_co_u32 v2, vcc_lo, v8, s8
	v_subrev_co_ci_u32_e64 v3, null, 0, v9, vcc_lo
	v_cmp_lt_i64_e32 vcc_lo, -1, v[2:3]
	v_cmp_gt_i64_e64 s0, s[0:1], v[2:3]
	s_and_b32 s0, vcc_lo, s0
	s_xor_b32 s6, s0, -1
	s_and_saveexec_b32 s7, s0
	s_cbranch_execz .LBB7_22
; %bb.2:
	s_load_dwordx2 s[0:1], s[4:5], 0x28
	v_mov_b32_e32 v14, 4
	s_waitcnt lgkmcnt(0)
	v_add_co_u32 v12, vcc_lo, s0, v0
	v_add_co_ci_u32_e64 v13, null, s1, v1, vcc_lo
	global_load_dwordx2 v[10:11], v[12:13], off
	s_waitcnt vmcnt(0)
	v_sub_co_u32 v0, vcc_lo, v10, s8
	v_subrev_co_ci_u32_e64 v1, null, 0, v11, vcc_lo
	v_cmp_lt_i64_e32 vcc_lo, -1, v[0:1]
	v_cmp_gt_i64_e64 s0, s[2:3], v[0:1]
	s_and_b32 s0, vcc_lo, s0
	s_xor_b32 s14, s0, -1
	s_and_saveexec_b32 s15, s0
	s_cbranch_execz .LBB7_21
; %bb.3:
	s_load_dwordx2 s[0:1], s[4:5], 0x18
	v_lshlrev_b64 v[0:1], 4, v[4:5]
	v_mov_b32_e32 v14, 1
	s_waitcnt lgkmcnt(0)
	v_add_co_u32 v0, vcc_lo, s0, v0
	v_add_co_ci_u32_e64 v1, null, s1, v1, vcc_lo
	global_load_dwordx4 v[0:3], v[0:1], off
	s_waitcnt vmcnt(0)
	v_cmp_eq_f64_e32 vcc_lo, 0x7ff00000, v[0:1]
	v_cmp_eq_f64_e64 s0, 0x7ff00000, v[2:3]
	s_or_b32 s16, vcc_lo, s0
	s_mov_b32 s0, -1
	s_xor_b32 s1, s16, -1
	s_and_saveexec_b32 s17, s1
	s_cbranch_execz .LBB7_20
; %bb.4:
	v_mov_b32_e32 v14, 2
	s_mov_b32 s18, exec_lo
	v_cmpx_o_f64_e32 v[0:1], v[2:3]
	s_cbranch_execz .LBB7_19
; %bb.5:
	s_cmp_lg_u32 s9, 0
	s_mov_b32 s19, 0
	s_cbranch_scc0 .LBB7_8
; %bb.6:
	s_cmp_lg_u32 s10, 0
	s_mov_b32 s0, 0
	s_cbranch_scc0 .LBB7_9
; %bb.7:
	v_cmp_le_i64_e32 vcc_lo, v[8:9], v[10:11]
	s_mov_b32 s9, -1
	s_mov_b32 s1, 7
	s_and_b32 s19, vcc_lo, exec_lo
	s_branch .LBB7_10
.LBB7_8:
	s_mov_b32 s19, -1
	s_mov_b32 s9, 0
	s_mov_b32 s1, 2
	s_branch .LBB7_12
.LBB7_9:
	s_mov_b32 s0, -1
	s_mov_b32 s1, 2
	s_mov_b32 s9, 0
.LBB7_10:
	s_andn2_b32 vcc_lo, exec_lo, s0
	s_cbranch_vccnz .LBB7_12
; %bb.11:
	v_cmp_lt_i64_e32 vcc_lo, v[8:9], v[10:11]
	v_cmp_ge_i64_e64 s0, v[8:9], v[10:11]
	s_andn2_b32 s9, s9, exec_lo
	s_andn2_b32 s10, s19, exec_lo
	s_mov_b32 s1, 7
	s_and_b32 s19, vcc_lo, exec_lo
	s_and_b32 s0, s0, exec_lo
	s_or_b32 s9, s9, s19
	s_or_b32 s19, s10, s0
.LBB7_12:
	v_mov_b32_e32 v14, s1
	s_and_saveexec_b32 s10, s19
	s_cbranch_execz .LBB7_18
; %bb.13:
	s_cmp_eq_u32 s11, 0
	v_mov_b32_e32 v14, s1
	s_cselect_b32 s11, -1, 0
	s_add_u32 s12, s12, -1
	s_addc_u32 s13, s13, -1
	s_mov_b32 s0, 0
	v_cmp_gt_u64_e32 vcc_lo, s[12:13], v[4:5]
	s_and_b32 s12, s11, vcc_lo
	s_and_saveexec_b32 s11, s12
	s_cbranch_execz .LBB7_17
; %bb.14:
	global_load_dwordx2 v[0:1], v[6:7], off offset:8
	v_mov_b32_e32 v14, s1
	s_mov_b32 s12, exec_lo
	s_waitcnt vmcnt(0)
	v_cmpx_eq_u64_e64 v[8:9], v[0:1]
	s_cbranch_execz .LBB7_16
; %bb.15:
	global_load_dwordx2 v[0:1], v[12:13], off offset:8
	v_mov_b32_e32 v14, 6
	s_waitcnt vmcnt(0)
	v_sub_co_u32 v2, vcc_lo, v0, s8
	v_subrev_co_ci_u32_e64 v3, null, 0, v1, vcc_lo
	v_cmp_gt_i64_e64 s1, v[10:11], v[0:1]
	v_cmp_lt_i64_e32 vcc_lo, -1, v[2:3]
	v_cmp_gt_i64_e64 s0, s[2:3], v[2:3]
	s_and_b32 s0, vcc_lo, s0
	s_and_b32 s0, s1, s0
	s_and_b32 s0, s0, exec_lo
.LBB7_16:
	s_or_b32 exec_lo, exec_lo, s12
	s_and_b32 s0, s0, exec_lo
.LBB7_17:
	s_or_b32 exec_lo, exec_lo, s11
	s_andn2_b32 s1, s9, exec_lo
	s_and_b32 s0, s0, exec_lo
	s_or_b32 s9, s1, s0
.LBB7_18:
	s_or_b32 exec_lo, exec_lo, s10
	s_orn2_b32 s0, s9, exec_lo
.LBB7_19:
	s_or_b32 exec_lo, exec_lo, s18
	s_andn2_b32 s1, s16, exec_lo
	s_and_b32 s0, s0, exec_lo
	s_or_b32 s16, s1, s0
.LBB7_20:
	s_or_b32 exec_lo, exec_lo, s17
	s_andn2_b32 s0, s14, exec_lo
	s_and_b32 s1, s16, exec_lo
	s_or_b32 s14, s0, s1
.LBB7_21:
	s_or_b32 exec_lo, exec_lo, s15
	s_andn2_b32 s0, s6, exec_lo
	s_and_b32 s1, s14, exec_lo
	s_or_b32 s6, s0, s1
.LBB7_22:
	s_or_b32 exec_lo, exec_lo, s7
	s_and_b32 exec_lo, exec_lo, s6
	s_cbranch_execz .LBB7_24
; %bb.23:
	s_load_dwordx2 s[0:1], s[4:5], 0x40
	v_mov_b32_e32 v0, 0
	s_waitcnt lgkmcnt(0)
	global_store_dword v0, v14, s[0:1]
.LBB7_24:
	s_endpgm
	.section	.rodata,"a",@progbits
	.p2align	6, 0x0
	.amdhsa_kernel _ZN9rocsparseL23check_matrix_coo_deviceILj256E21rocsparse_complex_numIdEllEEvT2_S3_lPKT0_PKT1_PKS3_21rocsparse_index_base_22rocsparse_matrix_type_20rocsparse_fill_mode_23rocsparse_storage_mode_P22rocsparse_data_status_
		.amdhsa_group_segment_fixed_size 0
		.amdhsa_private_segment_fixed_size 0
		.amdhsa_kernarg_size 72
		.amdhsa_user_sgpr_count 6
		.amdhsa_user_sgpr_private_segment_buffer 1
		.amdhsa_user_sgpr_dispatch_ptr 0
		.amdhsa_user_sgpr_queue_ptr 0
		.amdhsa_user_sgpr_kernarg_segment_ptr 1
		.amdhsa_user_sgpr_dispatch_id 0
		.amdhsa_user_sgpr_flat_scratch_init 0
		.amdhsa_user_sgpr_private_segment_size 0
		.amdhsa_wavefront_size32 1
		.amdhsa_uses_dynamic_stack 0
		.amdhsa_system_sgpr_private_segment_wavefront_offset 0
		.amdhsa_system_sgpr_workgroup_id_x 1
		.amdhsa_system_sgpr_workgroup_id_y 0
		.amdhsa_system_sgpr_workgroup_id_z 0
		.amdhsa_system_sgpr_workgroup_info 0
		.amdhsa_system_vgpr_workitem_id 0
		.amdhsa_next_free_vgpr 15
		.amdhsa_next_free_sgpr 20
		.amdhsa_reserve_vcc 1
		.amdhsa_reserve_flat_scratch 0
		.amdhsa_float_round_mode_32 0
		.amdhsa_float_round_mode_16_64 0
		.amdhsa_float_denorm_mode_32 3
		.amdhsa_float_denorm_mode_16_64 3
		.amdhsa_dx10_clamp 1
		.amdhsa_ieee_mode 1
		.amdhsa_fp16_overflow 0
		.amdhsa_workgroup_processor_mode 1
		.amdhsa_memory_ordered 1
		.amdhsa_forward_progress 1
		.amdhsa_shared_vgpr_count 0
		.amdhsa_exception_fp_ieee_invalid_op 0
		.amdhsa_exception_fp_denorm_src 0
		.amdhsa_exception_fp_ieee_div_zero 0
		.amdhsa_exception_fp_ieee_overflow 0
		.amdhsa_exception_fp_ieee_underflow 0
		.amdhsa_exception_fp_ieee_inexact 0
		.amdhsa_exception_int_div_zero 0
	.end_amdhsa_kernel
	.section	.text._ZN9rocsparseL23check_matrix_coo_deviceILj256E21rocsparse_complex_numIdEllEEvT2_S3_lPKT0_PKT1_PKS3_21rocsparse_index_base_22rocsparse_matrix_type_20rocsparse_fill_mode_23rocsparse_storage_mode_P22rocsparse_data_status_,"axG",@progbits,_ZN9rocsparseL23check_matrix_coo_deviceILj256E21rocsparse_complex_numIdEllEEvT2_S3_lPKT0_PKT1_PKS3_21rocsparse_index_base_22rocsparse_matrix_type_20rocsparse_fill_mode_23rocsparse_storage_mode_P22rocsparse_data_status_,comdat
.Lfunc_end7:
	.size	_ZN9rocsparseL23check_matrix_coo_deviceILj256E21rocsparse_complex_numIdEllEEvT2_S3_lPKT0_PKT1_PKS3_21rocsparse_index_base_22rocsparse_matrix_type_20rocsparse_fill_mode_23rocsparse_storage_mode_P22rocsparse_data_status_, .Lfunc_end7-_ZN9rocsparseL23check_matrix_coo_deviceILj256E21rocsparse_complex_numIdEllEEvT2_S3_lPKT0_PKT1_PKS3_21rocsparse_index_base_22rocsparse_matrix_type_20rocsparse_fill_mode_23rocsparse_storage_mode_P22rocsparse_data_status_
                                        ; -- End function
	.set _ZN9rocsparseL23check_matrix_coo_deviceILj256E21rocsparse_complex_numIdEllEEvT2_S3_lPKT0_PKT1_PKS3_21rocsparse_index_base_22rocsparse_matrix_type_20rocsparse_fill_mode_23rocsparse_storage_mode_P22rocsparse_data_status_.num_vgpr, 15
	.set _ZN9rocsparseL23check_matrix_coo_deviceILj256E21rocsparse_complex_numIdEllEEvT2_S3_lPKT0_PKT1_PKS3_21rocsparse_index_base_22rocsparse_matrix_type_20rocsparse_fill_mode_23rocsparse_storage_mode_P22rocsparse_data_status_.num_agpr, 0
	.set _ZN9rocsparseL23check_matrix_coo_deviceILj256E21rocsparse_complex_numIdEllEEvT2_S3_lPKT0_PKT1_PKS3_21rocsparse_index_base_22rocsparse_matrix_type_20rocsparse_fill_mode_23rocsparse_storage_mode_P22rocsparse_data_status_.numbered_sgpr, 20
	.set _ZN9rocsparseL23check_matrix_coo_deviceILj256E21rocsparse_complex_numIdEllEEvT2_S3_lPKT0_PKT1_PKS3_21rocsparse_index_base_22rocsparse_matrix_type_20rocsparse_fill_mode_23rocsparse_storage_mode_P22rocsparse_data_status_.num_named_barrier, 0
	.set _ZN9rocsparseL23check_matrix_coo_deviceILj256E21rocsparse_complex_numIdEllEEvT2_S3_lPKT0_PKT1_PKS3_21rocsparse_index_base_22rocsparse_matrix_type_20rocsparse_fill_mode_23rocsparse_storage_mode_P22rocsparse_data_status_.private_seg_size, 0
	.set _ZN9rocsparseL23check_matrix_coo_deviceILj256E21rocsparse_complex_numIdEllEEvT2_S3_lPKT0_PKT1_PKS3_21rocsparse_index_base_22rocsparse_matrix_type_20rocsparse_fill_mode_23rocsparse_storage_mode_P22rocsparse_data_status_.uses_vcc, 1
	.set _ZN9rocsparseL23check_matrix_coo_deviceILj256E21rocsparse_complex_numIdEllEEvT2_S3_lPKT0_PKT1_PKS3_21rocsparse_index_base_22rocsparse_matrix_type_20rocsparse_fill_mode_23rocsparse_storage_mode_P22rocsparse_data_status_.uses_flat_scratch, 0
	.set _ZN9rocsparseL23check_matrix_coo_deviceILj256E21rocsparse_complex_numIdEllEEvT2_S3_lPKT0_PKT1_PKS3_21rocsparse_index_base_22rocsparse_matrix_type_20rocsparse_fill_mode_23rocsparse_storage_mode_P22rocsparse_data_status_.has_dyn_sized_stack, 0
	.set _ZN9rocsparseL23check_matrix_coo_deviceILj256E21rocsparse_complex_numIdEllEEvT2_S3_lPKT0_PKT1_PKS3_21rocsparse_index_base_22rocsparse_matrix_type_20rocsparse_fill_mode_23rocsparse_storage_mode_P22rocsparse_data_status_.has_recursion, 0
	.set _ZN9rocsparseL23check_matrix_coo_deviceILj256E21rocsparse_complex_numIdEllEEvT2_S3_lPKT0_PKT1_PKS3_21rocsparse_index_base_22rocsparse_matrix_type_20rocsparse_fill_mode_23rocsparse_storage_mode_P22rocsparse_data_status_.has_indirect_call, 0
	.section	.AMDGPU.csdata,"",@progbits
; Kernel info:
; codeLenInByte = 740
; TotalNumSgprs: 22
; NumVgprs: 15
; ScratchSize: 0
; MemoryBound: 0
; FloatMode: 240
; IeeeMode: 1
; LDSByteSize: 0 bytes/workgroup (compile time only)
; SGPRBlocks: 0
; VGPRBlocks: 1
; NumSGPRsForWavesPerEU: 22
; NumVGPRsForWavesPerEU: 15
; Occupancy: 16
; WaveLimiterHint : 0
; COMPUTE_PGM_RSRC2:SCRATCH_EN: 0
; COMPUTE_PGM_RSRC2:USER_SGPR: 6
; COMPUTE_PGM_RSRC2:TRAP_HANDLER: 0
; COMPUTE_PGM_RSRC2:TGID_X_EN: 1
; COMPUTE_PGM_RSRC2:TGID_Y_EN: 0
; COMPUTE_PGM_RSRC2:TGID_Z_EN: 0
; COMPUTE_PGM_RSRC2:TIDIG_COMP_CNT: 0
	.section	.AMDGPU.gpr_maximums,"",@progbits
	.set amdgpu.max_num_vgpr, 0
	.set amdgpu.max_num_agpr, 0
	.set amdgpu.max_num_sgpr, 0
	.section	.AMDGPU.csdata,"",@progbits
	.type	__hip_cuid_80352742c7a5928c,@object ; @__hip_cuid_80352742c7a5928c
	.section	.bss,"aw",@nobits
	.globl	__hip_cuid_80352742c7a5928c
__hip_cuid_80352742c7a5928c:
	.byte	0                               ; 0x0
	.size	__hip_cuid_80352742c7a5928c, 1

	.ident	"AMD clang version 22.0.0git (https://github.com/RadeonOpenCompute/llvm-project roc-7.2.4 26084 f58b06dce1f9c15707c5f808fd002e18c2accf7e)"
	.section	".note.GNU-stack","",@progbits
	.addrsig
	.addrsig_sym __hip_cuid_80352742c7a5928c
	.amdgpu_metadata
---
amdhsa.kernels:
  - .args:
      - .offset:         0
        .size:           4
        .value_kind:     by_value
      - .offset:         4
        .size:           4
        .value_kind:     by_value
      - .offset:         8
        .size:           8
        .value_kind:     by_value
      - .actual_access:  read_only
        .address_space:  global
        .offset:         16
        .size:           8
        .value_kind:     global_buffer
      - .actual_access:  read_only
        .address_space:  global
        .offset:         24
        .size:           8
        .value_kind:     global_buffer
      - .actual_access:  read_only
        .address_space:  global
        .offset:         32
        .size:           8
        .value_kind:     global_buffer
      - .offset:         40
        .size:           4
        .value_kind:     by_value
      - .offset:         44
        .size:           4
        .value_kind:     by_value
      - .offset:         48
        .size:           4
        .value_kind:     by_value
      - .offset:         52
        .size:           4
        .value_kind:     by_value
      - .address_space:  global
        .offset:         56
        .size:           8
        .value_kind:     global_buffer
    .group_segment_fixed_size: 0
    .kernarg_segment_align: 8
    .kernarg_segment_size: 64
    .language:       OpenCL C
    .language_version:
      - 2
      - 0
    .max_flat_workgroup_size: 256
    .name:           _ZN9rocsparseL23check_matrix_coo_deviceILj256EfiiEEvT2_S1_lPKT0_PKT1_PKS1_21rocsparse_index_base_22rocsparse_matrix_type_20rocsparse_fill_mode_23rocsparse_storage_mode_P22rocsparse_data_status_
    .private_segment_fixed_size: 0
    .sgpr_count:     21
    .sgpr_spill_count: 0
    .symbol:         _ZN9rocsparseL23check_matrix_coo_deviceILj256EfiiEEvT2_S1_lPKT0_PKT1_PKS1_21rocsparse_index_base_22rocsparse_matrix_type_20rocsparse_fill_mode_23rocsparse_storage_mode_P22rocsparse_data_status_.kd
    .uniform_work_group_size: 1
    .uses_dynamic_stack: false
    .vgpr_count:     11
    .vgpr_spill_count: 0
    .wavefront_size: 32
    .workgroup_processor_mode: 1
  - .args:
      - .offset:         0
        .size:           4
        .value_kind:     by_value
      - .offset:         4
        .size:           4
        .value_kind:     by_value
      - .offset:         8
        .size:           8
        .value_kind:     by_value
      - .actual_access:  read_only
        .address_space:  global
        .offset:         16
        .size:           8
        .value_kind:     global_buffer
      - .actual_access:  read_only
        .address_space:  global
        .offset:         24
        .size:           8
        .value_kind:     global_buffer
      - .actual_access:  read_only
        .address_space:  global
        .offset:         32
        .size:           8
        .value_kind:     global_buffer
      - .offset:         40
        .size:           4
        .value_kind:     by_value
      - .offset:         44
        .size:           4
        .value_kind:     by_value
      - .offset:         48
        .size:           4
        .value_kind:     by_value
      - .offset:         52
        .size:           4
        .value_kind:     by_value
      - .address_space:  global
        .offset:         56
        .size:           8
        .value_kind:     global_buffer
    .group_segment_fixed_size: 0
    .kernarg_segment_align: 8
    .kernarg_segment_size: 64
    .language:       OpenCL C
    .language_version:
      - 2
      - 0
    .max_flat_workgroup_size: 256
    .name:           _ZN9rocsparseL23check_matrix_coo_deviceILj256EdiiEEvT2_S1_lPKT0_PKT1_PKS1_21rocsparse_index_base_22rocsparse_matrix_type_20rocsparse_fill_mode_23rocsparse_storage_mode_P22rocsparse_data_status_
    .private_segment_fixed_size: 0
    .sgpr_count:     21
    .sgpr_spill_count: 0
    .symbol:         _ZN9rocsparseL23check_matrix_coo_deviceILj256EdiiEEvT2_S1_lPKT0_PKT1_PKS1_21rocsparse_index_base_22rocsparse_matrix_type_20rocsparse_fill_mode_23rocsparse_storage_mode_P22rocsparse_data_status_.kd
    .uniform_work_group_size: 1
    .uses_dynamic_stack: false
    .vgpr_count:     11
    .vgpr_spill_count: 0
    .wavefront_size: 32
    .workgroup_processor_mode: 1
  - .args:
      - .offset:         0
        .size:           4
        .value_kind:     by_value
      - .offset:         4
        .size:           4
        .value_kind:     by_value
      - .offset:         8
        .size:           8
        .value_kind:     by_value
      - .actual_access:  read_only
        .address_space:  global
        .offset:         16
        .size:           8
        .value_kind:     global_buffer
      - .actual_access:  read_only
        .address_space:  global
        .offset:         24
        .size:           8
        .value_kind:     global_buffer
      - .actual_access:  read_only
        .address_space:  global
        .offset:         32
        .size:           8
        .value_kind:     global_buffer
      - .offset:         40
        .size:           4
        .value_kind:     by_value
      - .offset:         44
        .size:           4
        .value_kind:     by_value
      - .offset:         48
        .size:           4
        .value_kind:     by_value
      - .offset:         52
        .size:           4
        .value_kind:     by_value
      - .address_space:  global
        .offset:         56
        .size:           8
        .value_kind:     global_buffer
    .group_segment_fixed_size: 0
    .kernarg_segment_align: 8
    .kernarg_segment_size: 64
    .language:       OpenCL C
    .language_version:
      - 2
      - 0
    .max_flat_workgroup_size: 256
    .name:           _ZN9rocsparseL23check_matrix_coo_deviceILj256E21rocsparse_complex_numIfEiiEEvT2_S3_lPKT0_PKT1_PKS3_21rocsparse_index_base_22rocsparse_matrix_type_20rocsparse_fill_mode_23rocsparse_storage_mode_P22rocsparse_data_status_
    .private_segment_fixed_size: 0
    .sgpr_count:     21
    .sgpr_spill_count: 0
    .symbol:         _ZN9rocsparseL23check_matrix_coo_deviceILj256E21rocsparse_complex_numIfEiiEEvT2_S3_lPKT0_PKT1_PKS3_21rocsparse_index_base_22rocsparse_matrix_type_20rocsparse_fill_mode_23rocsparse_storage_mode_P22rocsparse_data_status_.kd
    .uniform_work_group_size: 1
    .uses_dynamic_stack: false
    .vgpr_count:     11
    .vgpr_spill_count: 0
    .wavefront_size: 32
    .workgroup_processor_mode: 1
  - .args:
      - .offset:         0
        .size:           4
        .value_kind:     by_value
      - .offset:         4
        .size:           4
        .value_kind:     by_value
      - .offset:         8
        .size:           8
        .value_kind:     by_value
      - .actual_access:  read_only
        .address_space:  global
        .offset:         16
        .size:           8
        .value_kind:     global_buffer
      - .actual_access:  read_only
        .address_space:  global
        .offset:         24
        .size:           8
        .value_kind:     global_buffer
      - .actual_access:  read_only
        .address_space:  global
        .offset:         32
        .size:           8
        .value_kind:     global_buffer
      - .offset:         40
        .size:           4
        .value_kind:     by_value
      - .offset:         44
        .size:           4
        .value_kind:     by_value
      - .offset:         48
        .size:           4
        .value_kind:     by_value
      - .offset:         52
        .size:           4
        .value_kind:     by_value
      - .address_space:  global
        .offset:         56
        .size:           8
        .value_kind:     global_buffer
    .group_segment_fixed_size: 0
    .kernarg_segment_align: 8
    .kernarg_segment_size: 64
    .language:       OpenCL C
    .language_version:
      - 2
      - 0
    .max_flat_workgroup_size: 256
    .name:           _ZN9rocsparseL23check_matrix_coo_deviceILj256E21rocsparse_complex_numIdEiiEEvT2_S3_lPKT0_PKT1_PKS3_21rocsparse_index_base_22rocsparse_matrix_type_20rocsparse_fill_mode_23rocsparse_storage_mode_P22rocsparse_data_status_
    .private_segment_fixed_size: 0
    .sgpr_count:     21
    .sgpr_spill_count: 0
    .symbol:         _ZN9rocsparseL23check_matrix_coo_deviceILj256E21rocsparse_complex_numIdEiiEEvT2_S3_lPKT0_PKT1_PKS3_21rocsparse_index_base_22rocsparse_matrix_type_20rocsparse_fill_mode_23rocsparse_storage_mode_P22rocsparse_data_status_.kd
    .uniform_work_group_size: 1
    .uses_dynamic_stack: false
    .vgpr_count:     13
    .vgpr_spill_count: 0
    .wavefront_size: 32
    .workgroup_processor_mode: 1
  - .args:
      - .offset:         0
        .size:           8
        .value_kind:     by_value
      - .offset:         8
        .size:           8
        .value_kind:     by_value
      - .offset:         16
        .size:           8
        .value_kind:     by_value
      - .actual_access:  read_only
        .address_space:  global
        .offset:         24
        .size:           8
        .value_kind:     global_buffer
      - .actual_access:  read_only
        .address_space:  global
        .offset:         32
        .size:           8
        .value_kind:     global_buffer
      - .actual_access:  read_only
        .address_space:  global
        .offset:         40
        .size:           8
        .value_kind:     global_buffer
      - .offset:         48
        .size:           4
        .value_kind:     by_value
      - .offset:         52
        .size:           4
        .value_kind:     by_value
      - .offset:         56
        .size:           4
        .value_kind:     by_value
      - .offset:         60
        .size:           4
        .value_kind:     by_value
      - .address_space:  global
        .offset:         64
        .size:           8
        .value_kind:     global_buffer
    .group_segment_fixed_size: 0
    .kernarg_segment_align: 8
    .kernarg_segment_size: 72
    .language:       OpenCL C
    .language_version:
      - 2
      - 0
    .max_flat_workgroup_size: 256
    .name:           _ZN9rocsparseL23check_matrix_coo_deviceILj256EfllEEvT2_S1_lPKT0_PKT1_PKS1_21rocsparse_index_base_22rocsparse_matrix_type_20rocsparse_fill_mode_23rocsparse_storage_mode_P22rocsparse_data_status_
    .private_segment_fixed_size: 0
    .sgpr_count:     22
    .sgpr_spill_count: 0
    .symbol:         _ZN9rocsparseL23check_matrix_coo_deviceILj256EfllEEvT2_S1_lPKT0_PKT1_PKS1_21rocsparse_index_base_22rocsparse_matrix_type_20rocsparse_fill_mode_23rocsparse_storage_mode_P22rocsparse_data_status_.kd
    .uniform_work_group_size: 1
    .uses_dynamic_stack: false
    .vgpr_count:     12
    .vgpr_spill_count: 0
    .wavefront_size: 32
    .workgroup_processor_mode: 1
  - .args:
      - .offset:         0
        .size:           8
        .value_kind:     by_value
      - .offset:         8
        .size:           8
        .value_kind:     by_value
      - .offset:         16
        .size:           8
        .value_kind:     by_value
      - .actual_access:  read_only
        .address_space:  global
        .offset:         24
        .size:           8
        .value_kind:     global_buffer
      - .actual_access:  read_only
        .address_space:  global
        .offset:         32
        .size:           8
        .value_kind:     global_buffer
      - .actual_access:  read_only
        .address_space:  global
        .offset:         40
        .size:           8
        .value_kind:     global_buffer
      - .offset:         48
        .size:           4
        .value_kind:     by_value
      - .offset:         52
        .size:           4
        .value_kind:     by_value
      - .offset:         56
        .size:           4
        .value_kind:     by_value
      - .offset:         60
        .size:           4
        .value_kind:     by_value
      - .address_space:  global
        .offset:         64
        .size:           8
        .value_kind:     global_buffer
    .group_segment_fixed_size: 0
    .kernarg_segment_align: 8
    .kernarg_segment_size: 72
    .language:       OpenCL C
    .language_version:
      - 2
      - 0
    .max_flat_workgroup_size: 256
    .name:           _ZN9rocsparseL23check_matrix_coo_deviceILj256EdllEEvT2_S1_lPKT0_PKT1_PKS1_21rocsparse_index_base_22rocsparse_matrix_type_20rocsparse_fill_mode_23rocsparse_storage_mode_P22rocsparse_data_status_
    .private_segment_fixed_size: 0
    .sgpr_count:     22
    .sgpr_spill_count: 0
    .symbol:         _ZN9rocsparseL23check_matrix_coo_deviceILj256EdllEEvT2_S1_lPKT0_PKT1_PKS1_21rocsparse_index_base_22rocsparse_matrix_type_20rocsparse_fill_mode_23rocsparse_storage_mode_P22rocsparse_data_status_.kd
    .uniform_work_group_size: 1
    .uses_dynamic_stack: false
    .vgpr_count:     14
    .vgpr_spill_count: 0
    .wavefront_size: 32
    .workgroup_processor_mode: 1
  - .args:
      - .offset:         0
        .size:           8
        .value_kind:     by_value
      - .offset:         8
        .size:           8
        .value_kind:     by_value
      - .offset:         16
        .size:           8
        .value_kind:     by_value
      - .actual_access:  read_only
        .address_space:  global
        .offset:         24
        .size:           8
        .value_kind:     global_buffer
      - .actual_access:  read_only
        .address_space:  global
        .offset:         32
        .size:           8
        .value_kind:     global_buffer
      - .actual_access:  read_only
        .address_space:  global
        .offset:         40
        .size:           8
        .value_kind:     global_buffer
      - .offset:         48
        .size:           4
        .value_kind:     by_value
      - .offset:         52
        .size:           4
        .value_kind:     by_value
      - .offset:         56
        .size:           4
        .value_kind:     by_value
      - .offset:         60
        .size:           4
        .value_kind:     by_value
      - .address_space:  global
        .offset:         64
        .size:           8
        .value_kind:     global_buffer
    .group_segment_fixed_size: 0
    .kernarg_segment_align: 8
    .kernarg_segment_size: 72
    .language:       OpenCL C
    .language_version:
      - 2
      - 0
    .max_flat_workgroup_size: 256
    .name:           _ZN9rocsparseL23check_matrix_coo_deviceILj256E21rocsparse_complex_numIfEllEEvT2_S3_lPKT0_PKT1_PKS3_21rocsparse_index_base_22rocsparse_matrix_type_20rocsparse_fill_mode_23rocsparse_storage_mode_P22rocsparse_data_status_
    .private_segment_fixed_size: 0
    .sgpr_count:     22
    .sgpr_spill_count: 0
    .symbol:         _ZN9rocsparseL23check_matrix_coo_deviceILj256E21rocsparse_complex_numIfEllEEvT2_S3_lPKT0_PKT1_PKS3_21rocsparse_index_base_22rocsparse_matrix_type_20rocsparse_fill_mode_23rocsparse_storage_mode_P22rocsparse_data_status_.kd
    .uniform_work_group_size: 1
    .uses_dynamic_stack: false
    .vgpr_count:     14
    .vgpr_spill_count: 0
    .wavefront_size: 32
    .workgroup_processor_mode: 1
  - .args:
      - .offset:         0
        .size:           8
        .value_kind:     by_value
      - .offset:         8
        .size:           8
        .value_kind:     by_value
      - .offset:         16
        .size:           8
        .value_kind:     by_value
      - .actual_access:  read_only
        .address_space:  global
        .offset:         24
        .size:           8
        .value_kind:     global_buffer
      - .actual_access:  read_only
        .address_space:  global
        .offset:         32
        .size:           8
        .value_kind:     global_buffer
      - .actual_access:  read_only
        .address_space:  global
        .offset:         40
        .size:           8
        .value_kind:     global_buffer
      - .offset:         48
        .size:           4
        .value_kind:     by_value
      - .offset:         52
        .size:           4
        .value_kind:     by_value
      - .offset:         56
        .size:           4
        .value_kind:     by_value
      - .offset:         60
        .size:           4
        .value_kind:     by_value
      - .address_space:  global
        .offset:         64
        .size:           8
        .value_kind:     global_buffer
    .group_segment_fixed_size: 0
    .kernarg_segment_align: 8
    .kernarg_segment_size: 72
    .language:       OpenCL C
    .language_version:
      - 2
      - 0
    .max_flat_workgroup_size: 256
    .name:           _ZN9rocsparseL23check_matrix_coo_deviceILj256E21rocsparse_complex_numIdEllEEvT2_S3_lPKT0_PKT1_PKS3_21rocsparse_index_base_22rocsparse_matrix_type_20rocsparse_fill_mode_23rocsparse_storage_mode_P22rocsparse_data_status_
    .private_segment_fixed_size: 0
    .sgpr_count:     22
    .sgpr_spill_count: 0
    .symbol:         _ZN9rocsparseL23check_matrix_coo_deviceILj256E21rocsparse_complex_numIdEllEEvT2_S3_lPKT0_PKT1_PKS3_21rocsparse_index_base_22rocsparse_matrix_type_20rocsparse_fill_mode_23rocsparse_storage_mode_P22rocsparse_data_status_.kd
    .uniform_work_group_size: 1
    .uses_dynamic_stack: false
    .vgpr_count:     15
    .vgpr_spill_count: 0
    .wavefront_size: 32
    .workgroup_processor_mode: 1
amdhsa.target:   amdgcn-amd-amdhsa--gfx1030
amdhsa.version:
  - 1
  - 2
...

	.end_amdgpu_metadata
